;; amdgpu-corpus repo=zjin-lcf/HeCBench kind=compiled arch=gfx1250 opt=O3
	.amdgcn_target "amdgcn-amd-amdhsa--gfx1250"
	.amdhsa_code_object_version 6
	.section	.text._Z4fillILb1EfEviPT0_S0_,"axG",@progbits,_Z4fillILb1EfEviPT0_S0_,comdat
	.protected	_Z4fillILb1EfEviPT0_S0_ ; -- Begin function _Z4fillILb1EfEviPT0_S0_
	.globl	_Z4fillILb1EfEviPT0_S0_
	.p2align	8
	.type	_Z4fillILb1EfEviPT0_S0_,@function
_Z4fillILb1EfEviPT0_S0_:                ; @_Z4fillILb1EfEviPT0_S0_
; %bb.0:
	s_clause 0x1
	s_load_b32 s2, s[0:1], 0x24
	s_load_b32 s4, s[0:1], 0x0
	s_bfe_u32 s3, ttmp6, 0x4000c
	s_and_b32 s5, ttmp6, 15
	s_add_co_i32 s3, s3, 1
	s_getreg_b32 s7, hwreg(HW_REG_IB_STS2, 6, 4)
	s_mul_i32 s3, ttmp9, s3
	s_delay_alu instid0(SALU_CYCLE_1)
	s_add_co_i32 s5, s5, s3
	s_wait_kmcnt 0x0
	s_and_b32 s6, s2, 0xffff
	s_cmp_eq_u32 s7, 0
	s_cselect_b32 s2, ttmp9, s5
	s_mov_b32 s5, 0
	v_mad_u32 v0, s2, s6, v0
	s_mov_b32 s2, exec_lo
	s_delay_alu instid0(VALU_DEP_1)
	v_cmpx_gt_i32_e64 s4, v0
	s_cbranch_execz .LBB0_3
; %bb.1:
	s_add_nc_u64 s[8:9], s[0:1], 24
	s_load_b32 s7, s[8:9], 0x0
	s_load_b64 s[2:3], s[0:1], 0x8
	s_wait_xcnt 0x0
	s_cvt_f32_i32 s0, s4
	s_wait_kmcnt 0x0
	s_mul_i32 s1, s7, s6
.LBB0_2:                                ; =>This Inner Loop Header: Depth=1
	v_add_nc_u32_e32 v1, 1, v0
	s_delay_alu instid0(VALU_DEP_1) | instskip(NEXT) | instid1(VALU_DEP_1)
	v_cvt_f32_i32_e32 v1, v1
	v_div_scale_f32 v2, null, s0, s0, v1
	v_div_scale_f32 v5, vcc_lo, v1, s0, v1
	s_delay_alu instid0(VALU_DEP_2) | instskip(SKIP_1) | instid1(TRANS32_DEP_1)
	v_rcp_f32_e32 v3, v2
	v_nop
	v_fma_f32 v4, -v2, v3, 1.0
	s_delay_alu instid0(VALU_DEP_1) | instskip(NEXT) | instid1(VALU_DEP_1)
	v_fmac_f32_e32 v3, v4, v3
	v_mul_f32_e32 v4, v5, v3
	s_delay_alu instid0(VALU_DEP_1) | instskip(NEXT) | instid1(VALU_DEP_1)
	v_fma_f32 v6, -v2, v4, v5
	v_fmac_f32_e32 v4, v6, v3
	s_delay_alu instid0(VALU_DEP_1) | instskip(NEXT) | instid1(VALU_DEP_1)
	v_fma_f32 v2, -v2, v4, v5
	v_div_fmas_f32 v2, v2, v3, v4
	s_delay_alu instid0(VALU_DEP_1) | instskip(SKIP_3) | instid1(VALU_DEP_1)
	v_div_fixup_f32 v1, v2, s0, v1
	global_store_b32 v0, v1, s[2:3] scale_offset
	s_wait_xcnt 0x0
	v_add_nc_u32_e32 v0, s1, v0
	v_cmp_le_i32_e32 vcc_lo, s4, v0
	s_or_b32 s5, vcc_lo, s5
	s_delay_alu instid0(SALU_CYCLE_1)
	s_and_not1_b32 exec_lo, exec_lo, s5
	s_cbranch_execnz .LBB0_2
.LBB0_3:
	s_endpgm
	.section	.rodata,"a",@progbits
	.p2align	6, 0x0
	.amdhsa_kernel _Z4fillILb1EfEviPT0_S0_
		.amdhsa_group_segment_fixed_size 0
		.amdhsa_private_segment_fixed_size 0
		.amdhsa_kernarg_size 280
		.amdhsa_user_sgpr_count 2
		.amdhsa_user_sgpr_dispatch_ptr 0
		.amdhsa_user_sgpr_queue_ptr 0
		.amdhsa_user_sgpr_kernarg_segment_ptr 1
		.amdhsa_user_sgpr_dispatch_id 0
		.amdhsa_user_sgpr_kernarg_preload_length 0
		.amdhsa_user_sgpr_kernarg_preload_offset 0
		.amdhsa_user_sgpr_private_segment_size 0
		.amdhsa_wavefront_size32 1
		.amdhsa_uses_dynamic_stack 0
		.amdhsa_enable_private_segment 0
		.amdhsa_system_sgpr_workgroup_id_x 1
		.amdhsa_system_sgpr_workgroup_id_y 0
		.amdhsa_system_sgpr_workgroup_id_z 0
		.amdhsa_system_sgpr_workgroup_info 0
		.amdhsa_system_vgpr_workitem_id 0
		.amdhsa_next_free_vgpr 7
		.amdhsa_next_free_sgpr 10
		.amdhsa_named_barrier_count 0
		.amdhsa_reserve_vcc 1
		.amdhsa_float_round_mode_32 0
		.amdhsa_float_round_mode_16_64 0
		.amdhsa_float_denorm_mode_32 3
		.amdhsa_float_denorm_mode_16_64 3
		.amdhsa_fp16_overflow 0
		.amdhsa_memory_ordered 1
		.amdhsa_forward_progress 1
		.amdhsa_inst_pref_size 3
		.amdhsa_round_robin_scheduling 0
		.amdhsa_exception_fp_ieee_invalid_op 0
		.amdhsa_exception_fp_denorm_src 0
		.amdhsa_exception_fp_ieee_div_zero 0
		.amdhsa_exception_fp_ieee_overflow 0
		.amdhsa_exception_fp_ieee_underflow 0
		.amdhsa_exception_fp_ieee_inexact 0
		.amdhsa_exception_int_div_zero 0
	.end_amdhsa_kernel
	.section	.text._Z4fillILb1EfEviPT0_S0_,"axG",@progbits,_Z4fillILb1EfEviPT0_S0_,comdat
.Lfunc_end0:
	.size	_Z4fillILb1EfEviPT0_S0_, .Lfunc_end0-_Z4fillILb1EfEviPT0_S0_
                                        ; -- End function
	.set _Z4fillILb1EfEviPT0_S0_.num_vgpr, 7
	.set _Z4fillILb1EfEviPT0_S0_.num_agpr, 0
	.set _Z4fillILb1EfEviPT0_S0_.numbered_sgpr, 10
	.set _Z4fillILb1EfEviPT0_S0_.num_named_barrier, 0
	.set _Z4fillILb1EfEviPT0_S0_.private_seg_size, 0
	.set _Z4fillILb1EfEviPT0_S0_.uses_vcc, 1
	.set _Z4fillILb1EfEviPT0_S0_.uses_flat_scratch, 0
	.set _Z4fillILb1EfEviPT0_S0_.has_dyn_sized_stack, 0
	.set _Z4fillILb1EfEviPT0_S0_.has_recursion, 0
	.set _Z4fillILb1EfEviPT0_S0_.has_indirect_call, 0
	.section	.AMDGPU.csdata,"",@progbits
; Kernel info:
; codeLenInByte = 292
; TotalNumSgprs: 12
; NumVgprs: 7
; ScratchSize: 0
; MemoryBound: 0
; FloatMode: 240
; IeeeMode: 1
; LDSByteSize: 0 bytes/workgroup (compile time only)
; SGPRBlocks: 0
; VGPRBlocks: 0
; NumSGPRsForWavesPerEU: 12
; NumVGPRsForWavesPerEU: 7
; NamedBarCnt: 0
; Occupancy: 16
; WaveLimiterHint : 0
; COMPUTE_PGM_RSRC2:SCRATCH_EN: 0
; COMPUTE_PGM_RSRC2:USER_SGPR: 2
; COMPUTE_PGM_RSRC2:TRAP_HANDLER: 0
; COMPUTE_PGM_RSRC2:TGID_X_EN: 1
; COMPUTE_PGM_RSRC2:TGID_Y_EN: 0
; COMPUTE_PGM_RSRC2:TGID_Z_EN: 0
; COMPUTE_PGM_RSRC2:TIDIG_COMP_CNT: 0
	.section	.text._Z4fillILb0EfEviPT0_S0_,"axG",@progbits,_Z4fillILb0EfEviPT0_S0_,comdat
	.protected	_Z4fillILb0EfEviPT0_S0_ ; -- Begin function _Z4fillILb0EfEviPT0_S0_
	.globl	_Z4fillILb0EfEviPT0_S0_
	.p2align	8
	.type	_Z4fillILb0EfEviPT0_S0_,@function
_Z4fillILb0EfEviPT0_S0_:                ; @_Z4fillILb0EfEviPT0_S0_
; %bb.0:
	s_clause 0x1
	s_load_b32 s3, s[0:1], 0x24
	s_load_b32 s2, s[0:1], 0x0
	s_bfe_u32 s4, ttmp6, 0x4000c
	s_and_b32 s5, ttmp6, 15
	s_add_co_i32 s4, s4, 1
	s_getreg_b32 s6, hwreg(HW_REG_IB_STS2, 6, 4)
	s_mul_i32 s4, ttmp9, s4
	s_delay_alu instid0(SALU_CYCLE_1)
	s_add_co_i32 s5, s5, s4
	s_mov_b32 s4, exec_lo
	s_wait_kmcnt 0x0
	s_and_b32 s7, s3, 0xffff
	s_cmp_eq_u32 s6, 0
	s_cselect_b32 s3, ttmp9, s5
	s_delay_alu instid0(SALU_CYCLE_1) | instskip(SKIP_1) | instid1(VALU_DEP_1)
	v_mad_u32 v0, s3, s7, v0
	s_mov_b32 s3, 0
	v_cmpx_gt_i32_e64 s2, v0
	s_cbranch_execz .LBB1_3
; %bb.1:
	s_load_b96 s[4:6], s[0:1], 0x8
	s_wait_xcnt 0x0
	s_add_nc_u64 s[0:1], s[0:1], 24
	s_load_b32 s0, s[0:1], 0x0
	s_wait_kmcnt 0x0
	v_mov_b32_e32 v1, s6
	s_mul_i32 s0, s0, s7
.LBB1_2:                                ; =>This Inner Loop Header: Depth=1
	global_store_b32 v0, v1, s[4:5] scale_offset
	s_wait_xcnt 0x0
	v_add_nc_u32_e32 v0, s0, v0
	s_delay_alu instid0(VALU_DEP_1) | instskip(SKIP_1) | instid1(SALU_CYCLE_1)
	v_cmp_le_i32_e32 vcc_lo, s2, v0
	s_or_b32 s3, vcc_lo, s3
	s_and_not1_b32 exec_lo, exec_lo, s3
	s_cbranch_execnz .LBB1_2
.LBB1_3:
	s_endpgm
	.section	.rodata,"a",@progbits
	.p2align	6, 0x0
	.amdhsa_kernel _Z4fillILb0EfEviPT0_S0_
		.amdhsa_group_segment_fixed_size 0
		.amdhsa_private_segment_fixed_size 0
		.amdhsa_kernarg_size 280
		.amdhsa_user_sgpr_count 2
		.amdhsa_user_sgpr_dispatch_ptr 0
		.amdhsa_user_sgpr_queue_ptr 0
		.amdhsa_user_sgpr_kernarg_segment_ptr 1
		.amdhsa_user_sgpr_dispatch_id 0
		.amdhsa_user_sgpr_kernarg_preload_length 0
		.amdhsa_user_sgpr_kernarg_preload_offset 0
		.amdhsa_user_sgpr_private_segment_size 0
		.amdhsa_wavefront_size32 1
		.amdhsa_uses_dynamic_stack 0
		.amdhsa_enable_private_segment 0
		.amdhsa_system_sgpr_workgroup_id_x 1
		.amdhsa_system_sgpr_workgroup_id_y 0
		.amdhsa_system_sgpr_workgroup_id_z 0
		.amdhsa_system_sgpr_workgroup_info 0
		.amdhsa_system_vgpr_workitem_id 0
		.amdhsa_next_free_vgpr 2
		.amdhsa_next_free_sgpr 8
		.amdhsa_named_barrier_count 0
		.amdhsa_reserve_vcc 1
		.amdhsa_float_round_mode_32 0
		.amdhsa_float_round_mode_16_64 0
		.amdhsa_float_denorm_mode_32 3
		.amdhsa_float_denorm_mode_16_64 3
		.amdhsa_fp16_overflow 0
		.amdhsa_memory_ordered 1
		.amdhsa_forward_progress 1
		.amdhsa_inst_pref_size 2
		.amdhsa_round_robin_scheduling 0
		.amdhsa_exception_fp_ieee_invalid_op 0
		.amdhsa_exception_fp_denorm_src 0
		.amdhsa_exception_fp_ieee_div_zero 0
		.amdhsa_exception_fp_ieee_overflow 0
		.amdhsa_exception_fp_ieee_underflow 0
		.amdhsa_exception_fp_ieee_inexact 0
		.amdhsa_exception_int_div_zero 0
	.end_amdhsa_kernel
	.section	.text._Z4fillILb0EfEviPT0_S0_,"axG",@progbits,_Z4fillILb0EfEviPT0_S0_,comdat
.Lfunc_end1:
	.size	_Z4fillILb0EfEviPT0_S0_, .Lfunc_end1-_Z4fillILb0EfEviPT0_S0_
                                        ; -- End function
	.set _Z4fillILb0EfEviPT0_S0_.num_vgpr, 2
	.set _Z4fillILb0EfEviPT0_S0_.num_agpr, 0
	.set _Z4fillILb0EfEviPT0_S0_.numbered_sgpr, 8
	.set _Z4fillILb0EfEviPT0_S0_.num_named_barrier, 0
	.set _Z4fillILb0EfEviPT0_S0_.private_seg_size, 0
	.set _Z4fillILb0EfEviPT0_S0_.uses_vcc, 1
	.set _Z4fillILb0EfEviPT0_S0_.uses_flat_scratch, 0
	.set _Z4fillILb0EfEviPT0_S0_.has_dyn_sized_stack, 0
	.set _Z4fillILb0EfEviPT0_S0_.has_recursion, 0
	.set _Z4fillILb0EfEviPT0_S0_.has_indirect_call, 0
	.section	.AMDGPU.csdata,"",@progbits
; Kernel info:
; codeLenInByte = 184
; TotalNumSgprs: 10
; NumVgprs: 2
; ScratchSize: 0
; MemoryBound: 0
; FloatMode: 240
; IeeeMode: 1
; LDSByteSize: 0 bytes/workgroup (compile time only)
; SGPRBlocks: 0
; VGPRBlocks: 0
; NumSGPRsForWavesPerEU: 10
; NumVGPRsForWavesPerEU: 2
; NamedBarCnt: 0
; Occupancy: 16
; WaveLimiterHint : 0
; COMPUTE_PGM_RSRC2:SCRATCH_EN: 0
; COMPUTE_PGM_RSRC2:USER_SGPR: 2
; COMPUTE_PGM_RSRC2:TRAP_HANDLER: 0
; COMPUTE_PGM_RSRC2:TGID_X_EN: 1
; COMPUTE_PGM_RSRC2:TGID_Y_EN: 0
; COMPUTE_PGM_RSRC2:TGID_Z_EN: 0
; COMPUTE_PGM_RSRC2:TIDIG_COMP_CNT: 0
	.section	.text._Z15jaccard_row_sumILb1EfEviPKiS1_PKT0_PS2_,"axG",@progbits,_Z15jaccard_row_sumILb1EfEviPKiS1_PKT0_PS2_,comdat
	.protected	_Z15jaccard_row_sumILb1EfEviPKiS1_PKT0_PS2_ ; -- Begin function _Z15jaccard_row_sumILb1EfEviPKiS1_PKT0_PS2_
	.globl	_Z15jaccard_row_sumILb1EfEviPKiS1_PKT0_PS2_
	.p2align	8
	.type	_Z15jaccard_row_sumILb1EfEviPKiS1_PKT0_PS2_,@function
_Z15jaccard_row_sumILb1EfEviPKiS1_PKT0_PS2_: ; @_Z15jaccard_row_sumILb1EfEviPKiS1_PKT0_PS2_
; %bb.0:
	s_clause 0x1
	s_load_u16 s2, s[0:1], 0x36
	s_load_b32 s12, s[0:1], 0x0
	s_bfe_u32 s3, ttmp6, 0x40010
	s_bfe_u32 s4, ttmp6, 0x40004
	s_add_co_i32 s3, s3, 1
	v_bfe_u32 v1, v0, 10, 10
	s_mul_i32 s3, ttmp7, s3
	s_delay_alu instid0(SALU_CYCLE_1) | instskip(SKIP_1) | instid1(SALU_CYCLE_1)
	s_add_co_i32 s4, s4, s3
	s_getreg_b32 s3, hwreg(HW_REG_IB_STS2, 6, 4)
	s_cmp_eq_u32 s3, 0
	s_cselect_b32 s3, ttmp7, s4
	s_mov_b32 s4, exec_lo
	s_wait_kmcnt 0x0
	v_mad_u32 v2, s3, s2, v1
	s_mov_b32 s3, 0
	s_delay_alu instid0(VALU_DEP_1)
	v_cmpx_gt_i32_e64 s12, v2
	s_cbranch_execz .LBB2_14
; %bb.1:
	s_add_nc_u64 s[14:15], s[0:1], 40
	v_mbcnt_lo_u32_b32 v9, -1, 0
	s_load_b32 s4, s[14:15], 0xc
	v_and_b32_e32 v8, 0x3ff, v0
	s_wait_kmcnt 0x0
	s_and_b32 s13, s4, 0xffff
	s_delay_alu instid0(SALU_CYCLE_1) | instskip(NEXT) | instid1(SALU_CYCLE_3)
	s_cvt_f32_u32 s4, s13
	v_rcp_iflag_f32_e32 v1, s4
	s_load_b32 s16, s[14:15], 0x4
	s_load_b256 s[4:11], s[0:1], 0x8
	s_wait_xcnt 0x0
	s_sub_co_i32 s15, 0, s13
	s_add_co_i32 s1, s13, -1
	s_cmp_gt_u32 s13, 1
	v_and_b32_e32 v10, s15, v9
	s_cselect_b32 s14, -1, 0
	v_readfirstlane_b32 s0, v1
	v_mov_b32_e32 v1, 0
	s_delay_alu instid0(VALU_DEP_3) | instskip(SKIP_1) | instid1(SALU_CYCLE_3)
	v_add_lshl_u32 v11, s1, v10, 2
	s_mul_f32 s0, s0, 0x4f7ffffe
	s_cvt_u32_f32 s17, s0
	v_cmp_eq_u32_e64 s0, 0, v8
	s_delay_alu instid0(SALU_CYCLE_2) | instskip(NEXT) | instid1(SALU_CYCLE_1)
	s_mul_i32 s15, s15, s17
	s_mul_hi_u32 s18, s17, s15
	s_wait_kmcnt 0x0
	s_mul_i32 s15, s16, s2
	s_add_co_i32 s2, s17, s18
	s_mov_b32 s16, s3
	s_branch .LBB2_3
.LBB2_2:                                ;   in Loop: Header=BB2_3 Depth=1
	s_wait_xcnt 0x0
	s_or_b32 exec_lo, exec_lo, s17
	v_add_nc_u32_e32 v2, s15, v2
	s_delay_alu instid0(VALU_DEP_1) | instskip(SKIP_1) | instid1(SALU_CYCLE_1)
	v_cmp_le_i32_e32 vcc_lo, s12, v2
	s_or_b32 s16, vcc_lo, s16
	s_and_not1_b32 exec_lo, exec_lo, s16
	s_cbranch_execz .LBB2_14
.LBB2_3:                                ; =>This Loop Header: Depth=1
                                        ;     Child Loop BB2_6 Depth 2
                                        ;       Child Loop BB2_10 Depth 3
	v_ashrrev_i32_e32 v3, 31, v2
	s_mov_b32 s17, exec_lo
	s_delay_alu instid0(VALU_DEP_1) | instskip(SKIP_4) | instid1(VALU_DEP_1)
	v_lshl_add_u64 v[4:5], v[2:3], 2, s[4:5]
	global_load_b64 v[4:5], v[4:5], off
	s_wait_loadcnt 0x0
	v_sub_nc_u32_e32 v12, v5, v4
	s_wait_dscnt 0x0
	v_add_nc_u32_e32 v0, s1, v12
	s_delay_alu instid0(VALU_DEP_1) | instskip(SKIP_1) | instid1(VALU_DEP_1)
	v_mul_u64_e32 v[6:7], s[2:3], v[0:1]
	s_wait_xcnt 0x0
	v_mul_lo_u32 v5, v7, s13
	s_delay_alu instid0(VALU_DEP_1) | instskip(NEXT) | instid1(VALU_DEP_1)
	v_dual_mov_b32 v7, 0 :: v_dual_sub_nc_u32 v5, v0, v5
	v_subrev_nc_u32_e32 v6, s13, v5
	v_cmp_le_u32_e32 vcc_lo, s13, v5
	s_delay_alu instid0(VALU_DEP_2) | instskip(NEXT) | instid1(VALU_DEP_1)
	v_cndmask_b32_e32 v5, v5, v6, vcc_lo
	v_subrev_nc_u32_e32 v6, s13, v5
	v_cmp_le_u32_e32 vcc_lo, s13, v5
	s_delay_alu instid0(VALU_DEP_2) | instskip(NEXT) | instid1(VALU_DEP_1)
	v_cndmask_b32_e32 v5, v5, v6, vcc_lo
	v_sub_nc_u32_e32 v0, v0, v5
	s_delay_alu instid0(VALU_DEP_1)
	v_cmpx_lt_i32_e64 v8, v0
	s_cbranch_execz .LBB2_12
; %bb.4:                                ;   in Loop: Header=BB2_3 Depth=1
	v_dual_ashrrev_i32 v5, 31, v4 :: v_dual_mov_b32 v7, 0
	v_mov_b32_e32 v6, v8
	s_mov_b32 s18, 0
	s_delay_alu instid0(VALU_DEP_2)
	v_lshl_add_u64 v[4:5], v[4:5], 2, s[6:7]
	s_branch .LBB2_6
.LBB2_5:                                ;   in Loop: Header=BB2_6 Depth=2
	s_wait_loadcnt_dscnt 0x0
	s_delay_alu instid0(VALU_DEP_1) | instskip(NEXT) | instid1(VALU_DEP_1)
	v_dual_add_f32 v7, v7, v13 :: v_dual_add_nc_u32 v6, s13, v6
	v_cmp_ge_i32_e32 vcc_lo, v6, v0
	s_or_b32 s18, vcc_lo, s18
	s_delay_alu instid0(SALU_CYCLE_1)
	s_and_not1_b32 exec_lo, exec_lo, s18
	s_cbranch_execz .LBB2_11
.LBB2_6:                                ;   Parent Loop BB2_3 Depth=1
                                        ; =>  This Loop Header: Depth=2
                                        ;       Child Loop BB2_10 Depth 3
	ds_bpermute_b32 v13, v11, v7
	v_mov_b32_e32 v7, 0
	s_mov_b32 s19, exec_lo
	v_cmpx_lt_i32_e64 v6, v12
	s_cbranch_execz .LBB2_8
; %bb.7:                                ;   in Loop: Header=BB2_6 Depth=2
	v_ashrrev_i32_e32 v7, 31, v6
	s_delay_alu instid0(VALU_DEP_1)
	v_lshl_add_u64 v[14:15], v[6:7], 2, v[4:5]
	global_load_b32 v7, v[14:15], off
	s_wait_loadcnt 0x0
	global_load_b32 v7, v7, s[8:9] scale_offset
.LBB2_8:                                ;   in Loop: Header=BB2_6 Depth=2
	s_wait_xcnt 0x0
	s_or_b32 exec_lo, exec_lo, s19
	s_delay_alu instid0(SALU_CYCLE_1)
	s_and_not1_b32 vcc_lo, exec_lo, s14
	s_cbranch_vccnz .LBB2_5
; %bb.9:                                ;   in Loop: Header=BB2_6 Depth=2
	s_mov_b32 s19, 1
.LBB2_10:                               ;   Parent Loop BB2_3 Depth=1
                                        ;     Parent Loop BB2_6 Depth=2
                                        ; =>    This Inner Loop Header: Depth=3
	s_delay_alu instid0(SALU_CYCLE_1) | instskip(NEXT) | instid1(VALU_DEP_1)
	v_subrev_nc_u32_e32 v14, s19, v9
	v_cmp_lt_i32_e32 vcc_lo, v14, v10
	v_cndmask_b32_e32 v14, v14, v9, vcc_lo
	v_cmp_gt_u32_e32 vcc_lo, s19, v8
	s_lshl_b32 s19, s19, 1
	s_delay_alu instid0(SALU_CYCLE_1) | instskip(NEXT) | instid1(VALU_DEP_2)
	s_cmp_ge_u32 s19, s13
	v_lshlrev_b32_e32 v14, 2, v14
	s_wait_loadcnt 0x0
	ds_bpermute_b32 v14, v14, v7
	s_wait_dscnt 0x0
	v_add_f32_e32 v14, v7, v14
	s_delay_alu instid0(VALU_DEP_1)
	v_cndmask_b32_e32 v7, v14, v7, vcc_lo
	s_cbranch_scc0 .LBB2_10
	s_branch .LBB2_5
.LBB2_11:                               ;   in Loop: Header=BB2_3 Depth=1
	s_or_b32 exec_lo, exec_lo, s18
.LBB2_12:                               ;   in Loop: Header=BB2_3 Depth=1
	s_delay_alu instid0(SALU_CYCLE_1)
	s_or_b32 exec_lo, exec_lo, s17
	ds_bpermute_b32 v0, v11, v7
	s_and_saveexec_b32 s17, s0
	s_cbranch_execz .LBB2_2
; %bb.13:                               ;   in Loop: Header=BB2_3 Depth=1
	v_lshl_add_u64 v[4:5], v[2:3], 2, s[10:11]
	s_wait_dscnt 0x0
	global_store_b32 v[4:5], v0, off
	s_branch .LBB2_2
.LBB2_14:
	s_endpgm
	.section	.rodata,"a",@progbits
	.p2align	6, 0x0
	.amdhsa_kernel _Z15jaccard_row_sumILb1EfEviPKiS1_PKT0_PS2_
		.amdhsa_group_segment_fixed_size 0
		.amdhsa_private_segment_fixed_size 0
		.amdhsa_kernarg_size 296
		.amdhsa_user_sgpr_count 2
		.amdhsa_user_sgpr_dispatch_ptr 0
		.amdhsa_user_sgpr_queue_ptr 0
		.amdhsa_user_sgpr_kernarg_segment_ptr 1
		.amdhsa_user_sgpr_dispatch_id 0
		.amdhsa_user_sgpr_kernarg_preload_length 0
		.amdhsa_user_sgpr_kernarg_preload_offset 0
		.amdhsa_user_sgpr_private_segment_size 0
		.amdhsa_wavefront_size32 1
		.amdhsa_uses_dynamic_stack 0
		.amdhsa_enable_private_segment 0
		.amdhsa_system_sgpr_workgroup_id_x 1
		.amdhsa_system_sgpr_workgroup_id_y 1
		.amdhsa_system_sgpr_workgroup_id_z 0
		.amdhsa_system_sgpr_workgroup_info 0
		.amdhsa_system_vgpr_workitem_id 1
		.amdhsa_next_free_vgpr 16
		.amdhsa_next_free_sgpr 20
		.amdhsa_named_barrier_count 0
		.amdhsa_reserve_vcc 1
		.amdhsa_float_round_mode_32 0
		.amdhsa_float_round_mode_16_64 0
		.amdhsa_float_denorm_mode_32 3
		.amdhsa_float_denorm_mode_16_64 3
		.amdhsa_fp16_overflow 0
		.amdhsa_memory_ordered 1
		.amdhsa_forward_progress 1
		.amdhsa_inst_pref_size 6
		.amdhsa_round_robin_scheduling 0
		.amdhsa_exception_fp_ieee_invalid_op 0
		.amdhsa_exception_fp_denorm_src 0
		.amdhsa_exception_fp_ieee_div_zero 0
		.amdhsa_exception_fp_ieee_overflow 0
		.amdhsa_exception_fp_ieee_underflow 0
		.amdhsa_exception_fp_ieee_inexact 0
		.amdhsa_exception_int_div_zero 0
	.end_amdhsa_kernel
	.section	.text._Z15jaccard_row_sumILb1EfEviPKiS1_PKT0_PS2_,"axG",@progbits,_Z15jaccard_row_sumILb1EfEviPKiS1_PKT0_PS2_,comdat
.Lfunc_end2:
	.size	_Z15jaccard_row_sumILb1EfEviPKiS1_PKT0_PS2_, .Lfunc_end2-_Z15jaccard_row_sumILb1EfEviPKiS1_PKT0_PS2_
                                        ; -- End function
	.set _Z15jaccard_row_sumILb1EfEviPKiS1_PKT0_PS2_.num_vgpr, 16
	.set _Z15jaccard_row_sumILb1EfEviPKiS1_PKT0_PS2_.num_agpr, 0
	.set _Z15jaccard_row_sumILb1EfEviPKiS1_PKT0_PS2_.numbered_sgpr, 20
	.set _Z15jaccard_row_sumILb1EfEviPKiS1_PKT0_PS2_.num_named_barrier, 0
	.set _Z15jaccard_row_sumILb1EfEviPKiS1_PKT0_PS2_.private_seg_size, 0
	.set _Z15jaccard_row_sumILb1EfEviPKiS1_PKT0_PS2_.uses_vcc, 1
	.set _Z15jaccard_row_sumILb1EfEviPKiS1_PKT0_PS2_.uses_flat_scratch, 0
	.set _Z15jaccard_row_sumILb1EfEviPKiS1_PKT0_PS2_.has_dyn_sized_stack, 0
	.set _Z15jaccard_row_sumILb1EfEviPKiS1_PKT0_PS2_.has_recursion, 0
	.set _Z15jaccard_row_sumILb1EfEviPKiS1_PKT0_PS2_.has_indirect_call, 0
	.section	.AMDGPU.csdata,"",@progbits
; Kernel info:
; codeLenInByte = 740
; TotalNumSgprs: 22
; NumVgprs: 16
; ScratchSize: 0
; MemoryBound: 0
; FloatMode: 240
; IeeeMode: 1
; LDSByteSize: 0 bytes/workgroup (compile time only)
; SGPRBlocks: 0
; VGPRBlocks: 0
; NumSGPRsForWavesPerEU: 22
; NumVGPRsForWavesPerEU: 16
; NamedBarCnt: 0
; Occupancy: 16
; WaveLimiterHint : 1
; COMPUTE_PGM_RSRC2:SCRATCH_EN: 0
; COMPUTE_PGM_RSRC2:USER_SGPR: 2
; COMPUTE_PGM_RSRC2:TRAP_HANDLER: 0
; COMPUTE_PGM_RSRC2:TGID_X_EN: 1
; COMPUTE_PGM_RSRC2:TGID_Y_EN: 1
; COMPUTE_PGM_RSRC2:TGID_Z_EN: 0
; COMPUTE_PGM_RSRC2:TIDIG_COMP_CNT: 1
	.section	.text._Z14jaccard_is_optILb1EfEviiPKiS1_PKT0_S4_PS2_S5_,"axG",@progbits,_Z14jaccard_is_optILb1EfEviiPKiS1_PKT0_S4_PS2_S5_,comdat
	.protected	_Z14jaccard_is_optILb1EfEviiPKiS1_PKT0_S4_PS2_S5_ ; -- Begin function _Z14jaccard_is_optILb1EfEviiPKiS1_PKT0_S4_PS2_S5_
	.globl	_Z14jaccard_is_optILb1EfEviiPKiS1_PKT0_S4_PS2_S5_
	.p2align	8
	.type	_Z14jaccard_is_optILb1EfEviiPKiS1_PKT0_S4_PS2_S5_,@function
_Z14jaccard_is_optILb1EfEviiPKiS1_PKT0_S4_PS2_S5_: ; @_Z14jaccard_is_optILb1EfEviiPKiS1_PKT0_S4_PS2_S5_
; %bb.0:
	s_clause 0x1
	s_load_b32 s3, s[0:1], 0x48
	s_load_b32 s2, s[0:1], 0x0
	s_bfe_u32 s4, ttmp6, 0x40014
	s_lshr_b32 s5, ttmp7, 16
	s_add_co_i32 s4, s4, 1
	s_bfe_u32 s6, ttmp6, 0x40008
	s_mul_i32 s4, s5, s4
	s_getreg_b32 s16, hwreg(HW_REG_IB_STS2, 6, 4)
	s_add_co_i32 s6, s6, s4
	v_bfe_u32 v1, v0, 20, 10
	s_mov_b32 s4, exec_lo
	s_wait_kmcnt 0x0
	s_and_b32 s17, s3, 0xffff
	s_cmp_eq_u32 s16, 0
	s_cselect_b32 s3, s5, s6
	s_delay_alu instid0(SALU_CYCLE_1) | instskip(SKIP_1) | instid1(VALU_DEP_1)
	v_mad_u32 v2, s3, s17, v1
	s_mov_b32 s3, 0
	v_cmpx_gt_i32_e64 s2, v2
	s_cbranch_execz .LBB3_21
; %bb.1:
	s_add_nc_u64 s[12:13], s[0:1], 56
	s_and_b32 s21, ttmp7, 0xffff
	s_clause 0x1
	s_load_u16 s20, s[12:13], 0xe
	s_load_b64 s[18:19], s[12:13], 0x4
	s_load_b256 s[4:11], s[0:1], 0x8
	s_wait_xcnt 0x0
	s_bfe_u32 s12, ttmp6, 0x40010
	v_bfe_u32 v1, v0, 10, 10
	s_add_co_i32 s22, s12, 1
	s_load_b128 s[12:15], s[0:1], 0x28
	s_wait_xcnt 0x0
	s_mul_i32 s0, s21, s22
	s_bfe_u32 s1, ttmp6, 0x40004
	v_and_b32_e32 v0, 0x3ff, v0
	s_add_co_i32 s1, s1, s0
	s_cmp_eq_u32 s16, 0
	s_cselect_b32 s0, s21, s1
	s_delay_alu instid0(VALU_DEP_1)
	v_cmp_eq_u32_e32 vcc_lo, 0, v0
	s_wait_kmcnt 0x0
	v_mad_u32 v10, s0, s20, v1
	s_mul_i32 s16, s18, s20
	s_mul_i32 s17, s19, s17
	s_branch .LBB3_3
.LBB3_2:                                ;   in Loop: Header=BB3_3 Depth=1
	s_or_b32 exec_lo, exec_lo, s18
	v_add_nc_u32_e32 v2, s17, v2
	s_delay_alu instid0(VALU_DEP_1) | instskip(SKIP_1) | instid1(SALU_CYCLE_1)
	v_cmp_le_i32_e64 s0, s2, v2
	s_or_b32 s3, s0, s3
	s_and_not1_b32 exec_lo, exec_lo, s3
	s_cbranch_execz .LBB3_21
.LBB3_3:                                ; =>This Loop Header: Depth=1
                                        ;     Child Loop BB3_6 Depth 2
                                        ;       Child Loop BB3_10 Depth 3
	v_ashrrev_i32_e32 v3, 31, v2
	s_mov_b32 s18, exec_lo
	s_delay_alu instid0(VALU_DEP_1) | instskip(SKIP_4) | instid1(VALU_DEP_1)
	v_lshl_add_u64 v[0:1], v[2:3], 2, s[4:5]
	global_load_b64 v[0:1], v[0:1], off
	s_wait_loadcnt 0x0
	v_add_nc_u32_e32 v4, v0, v10
	s_wait_xcnt 0x0
	v_cmpx_lt_i32_e64 v4, v1
	s_cbranch_execz .LBB3_2
; %bb.4:                                ;   in Loop: Header=BB3_3 Depth=1
	v_lshl_add_u64 v[6:7], v[2:3], 2, s[10:11]
	v_sub_nc_u32_e32 v0, v1, v0
	s_mov_b32 s19, 0
	global_load_b32 v3, v[6:7], off
	s_branch .LBB3_6
.LBB3_5:                                ;   in Loop: Header=BB3_6 Depth=2
	s_wait_xcnt 0x0
	s_or_b32 exec_lo, exec_lo, s20
	v_add_nc_u32_e32 v4, s16, v4
	s_delay_alu instid0(VALU_DEP_1) | instskip(SKIP_1) | instid1(SALU_CYCLE_1)
	v_cmp_ge_i32_e64 s0, v4, v1
	s_or_b32 s19, s0, s19
	s_and_not1_b32 exec_lo, exec_lo, s19
	s_cbranch_execz .LBB3_2
.LBB3_6:                                ;   Parent Loop BB3_3 Depth=1
                                        ; =>  This Loop Header: Depth=2
                                        ;       Child Loop BB3_10 Depth 3
	global_load_b32 v6, v4, s[6:7] scale_offset
	s_wait_loadcnt 0x0
	global_load_b32 v5, v6, s[10:11] scale_offset
	s_wait_loadcnt 0x0
	v_dual_add_f32 v7, v3, v5 :: v_dual_ashrrev_i32 v5, 31, v4
	global_store_b32 v4, v7, s[14:15] scale_offset
	s_wait_xcnt 0x0
	s_and_saveexec_b32 s20, vcc_lo
	s_cbranch_execz .LBB3_5
; %bb.7:                                ;   in Loop: Header=BB3_6 Depth=2
	v_dual_ashrrev_i32 v7, 31, v6 :: v_dual_mov_b32 v11, 0
	s_delay_alu instid0(VALU_DEP_1) | instskip(SKIP_3) | instid1(VALU_DEP_1)
	v_lshl_add_u64 v[8:9], v[6:7], 2, s[4:5]
	global_load_b64 v[8:9], v[8:9], off
	s_wait_loadcnt 0x0
	v_sub_nc_u32_e32 v7, v9, v8
	v_cmp_lt_i32_e64 s0, v0, v7
	s_wait_xcnt 0x0
	s_delay_alu instid0(VALU_DEP_1) | instskip(NEXT) | instid1(VALU_DEP_1)
	v_cndmask_b32_e64 v8, v2, v6, s0
	v_dual_cndmask_b32 v6, v6, v2, s0 :: v_dual_ashrrev_i32 v9, 31, v8
	s_delay_alu instid0(VALU_DEP_1) | instskip(NEXT) | instid1(VALU_DEP_2)
	v_ashrrev_i32_e32 v7, 31, v6
	v_lshl_add_u64 v[14:15], v[8:9], 2, s[4:5]
	s_delay_alu instid0(VALU_DEP_2)
	v_lshl_add_u64 v[12:13], v[6:7], 2, s[4:5]
	s_clause 0x1
	global_load_b64 v[6:7], v[12:13], off
	global_load_b64 v[8:9], v[14:15], off
	s_wait_loadcnt 0x1
	v_cmp_lt_i32_e64 s0, v6, v7
	s_wait_loadcnt 0x0
	v_cmp_lt_i32_e64 s1, v8, v9
	s_and_b32 s0, s0, s1
	s_wait_xcnt 0x0
	s_and_saveexec_b32 s21, s0
	s_cbranch_execz .LBB3_19
; %bb.8:                                ;   in Loop: Header=BB3_6 Depth=2
	v_mov_b32_e32 v11, 0
	s_mov_b32 s22, 0
	s_branch .LBB3_10
.LBB3_9:                                ;   in Loop: Header=BB3_10 Depth=3
	s_wait_xcnt 0x0
	s_or_b32 exec_lo, exec_lo, s0
	v_cmp_ge_i32_e64 s0, v6, v7
	v_cmp_ge_i32_e64 s1, v8, v9
	s_or_b32 s0, s0, s1
	s_delay_alu instid0(SALU_CYCLE_1) | instskip(NEXT) | instid1(SALU_CYCLE_1)
	s_and_b32 s0, exec_lo, s0
	s_or_b32 s22, s0, s22
	s_delay_alu instid0(SALU_CYCLE_1)
	s_and_not1_b32 exec_lo, exec_lo, s22
	s_cbranch_execz .LBB3_18
.LBB3_10:                               ;   Parent Loop BB3_3 Depth=1
                                        ;     Parent Loop BB3_6 Depth=2
                                        ; =>    This Inner Loop Header: Depth=3
	s_clause 0x1
	global_load_b32 v12, v6, s[6:7] scale_offset
	global_load_b32 v13, v8, s[6:7] scale_offset
	s_mov_b32 s1, exec_lo
	s_wait_loadcnt 0x0
	v_cmpx_ne_u32_e64 v12, v13
	s_xor_b32 s1, exec_lo, s1
	s_cbranch_execz .LBB3_16
; %bb.11:                               ;   in Loop: Header=BB3_10 Depth=3
	v_cmp_ge_i32_e64 s0, v12, v13
	s_and_saveexec_b32 s23, s0
	s_delay_alu instid0(SALU_CYCLE_1)
	s_xor_b32 s0, exec_lo, s23
; %bb.12:                               ;   in Loop: Header=BB3_10 Depth=3
	v_add_nc_u32_e32 v8, 1, v8
; %bb.13:                               ;   in Loop: Header=BB3_10 Depth=3
	s_and_not1_saveexec_b32 s0, s0
; %bb.14:                               ;   in Loop: Header=BB3_10 Depth=3
	v_add_nc_u32_e32 v6, 1, v6
; %bb.15:                               ;   in Loop: Header=BB3_10 Depth=3
	s_or_b32 exec_lo, exec_lo, s0
                                        ; implicit-def: $vgpr12
.LBB3_16:                               ;   in Loop: Header=BB3_10 Depth=3
	s_and_not1_saveexec_b32 s0, s1
	s_cbranch_execz .LBB3_9
; %bb.17:                               ;   in Loop: Header=BB3_10 Depth=3
	global_load_b32 v12, v12, s[8:9] scale_offset
	v_dual_add_nc_u32 v6, 1, v6 :: v_dual_add_nc_u32 v8, 1, v8
	s_wait_loadcnt 0x0
	v_add_f32_e32 v11, v11, v12
	s_branch .LBB3_9
.LBB3_18:                               ;   in Loop: Header=BB3_6 Depth=2
	s_or_b32 exec_lo, exec_lo, s22
.LBB3_19:                               ;   in Loop: Header=BB3_6 Depth=2
	s_delay_alu instid0(SALU_CYCLE_1)
	s_or_b32 exec_lo, exec_lo, s21
	v_cmp_neq_f32_e64 s0, 0, v11
	s_and_b32 exec_lo, exec_lo, s0
	s_cbranch_execz .LBB3_5
; %bb.20:                               ;   in Loop: Header=BB3_6 Depth=2
	v_lshl_add_u64 v[6:7], v[4:5], 2, s[12:13]
	global_atomic_add_f32 v[6:7], v11, off scope:SCOPE_DEV
	s_branch .LBB3_5
.LBB3_21:
	s_endpgm
	.section	.rodata,"a",@progbits
	.p2align	6, 0x0
	.amdhsa_kernel _Z14jaccard_is_optILb1EfEviiPKiS1_PKT0_S4_PS2_S5_
		.amdhsa_group_segment_fixed_size 0
		.amdhsa_private_segment_fixed_size 0
		.amdhsa_kernarg_size 312
		.amdhsa_user_sgpr_count 2
		.amdhsa_user_sgpr_dispatch_ptr 0
		.amdhsa_user_sgpr_queue_ptr 0
		.amdhsa_user_sgpr_kernarg_segment_ptr 1
		.amdhsa_user_sgpr_dispatch_id 0
		.amdhsa_user_sgpr_kernarg_preload_length 0
		.amdhsa_user_sgpr_kernarg_preload_offset 0
		.amdhsa_user_sgpr_private_segment_size 0
		.amdhsa_wavefront_size32 1
		.amdhsa_uses_dynamic_stack 0
		.amdhsa_enable_private_segment 0
		.amdhsa_system_sgpr_workgroup_id_x 1
		.amdhsa_system_sgpr_workgroup_id_y 1
		.amdhsa_system_sgpr_workgroup_id_z 1
		.amdhsa_system_sgpr_workgroup_info 0
		.amdhsa_system_vgpr_workitem_id 2
		.amdhsa_next_free_vgpr 16
		.amdhsa_next_free_sgpr 24
		.amdhsa_named_barrier_count 0
		.amdhsa_reserve_vcc 1
		.amdhsa_float_round_mode_32 0
		.amdhsa_float_round_mode_16_64 0
		.amdhsa_float_denorm_mode_32 3
		.amdhsa_float_denorm_mode_16_64 3
		.amdhsa_fp16_overflow 0
		.amdhsa_memory_ordered 1
		.amdhsa_forward_progress 1
		.amdhsa_inst_pref_size 8
		.amdhsa_round_robin_scheduling 0
		.amdhsa_exception_fp_ieee_invalid_op 0
		.amdhsa_exception_fp_denorm_src 0
		.amdhsa_exception_fp_ieee_div_zero 0
		.amdhsa_exception_fp_ieee_overflow 0
		.amdhsa_exception_fp_ieee_underflow 0
		.amdhsa_exception_fp_ieee_inexact 0
		.amdhsa_exception_int_div_zero 0
	.end_amdhsa_kernel
	.section	.text._Z14jaccard_is_optILb1EfEviiPKiS1_PKT0_S4_PS2_S5_,"axG",@progbits,_Z14jaccard_is_optILb1EfEviiPKiS1_PKT0_S4_PS2_S5_,comdat
.Lfunc_end3:
	.size	_Z14jaccard_is_optILb1EfEviiPKiS1_PKT0_S4_PS2_S5_, .Lfunc_end3-_Z14jaccard_is_optILb1EfEviiPKiS1_PKT0_S4_PS2_S5_
                                        ; -- End function
	.set _Z14jaccard_is_optILb1EfEviiPKiS1_PKT0_S4_PS2_S5_.num_vgpr, 16
	.set _Z14jaccard_is_optILb1EfEviiPKiS1_PKT0_S4_PS2_S5_.num_agpr, 0
	.set _Z14jaccard_is_optILb1EfEviiPKiS1_PKT0_S4_PS2_S5_.numbered_sgpr, 24
	.set _Z14jaccard_is_optILb1EfEviiPKiS1_PKT0_S4_PS2_S5_.num_named_barrier, 0
	.set _Z14jaccard_is_optILb1EfEviiPKiS1_PKT0_S4_PS2_S5_.private_seg_size, 0
	.set _Z14jaccard_is_optILb1EfEviiPKiS1_PKT0_S4_PS2_S5_.uses_vcc, 1
	.set _Z14jaccard_is_optILb1EfEviiPKiS1_PKT0_S4_PS2_S5_.uses_flat_scratch, 0
	.set _Z14jaccard_is_optILb1EfEviiPKiS1_PKT0_S4_PS2_S5_.has_dyn_sized_stack, 0
	.set _Z14jaccard_is_optILb1EfEviiPKiS1_PKT0_S4_PS2_S5_.has_recursion, 0
	.set _Z14jaccard_is_optILb1EfEviiPKiS1_PKT0_S4_PS2_S5_.has_indirect_call, 0
	.section	.AMDGPU.csdata,"",@progbits
; Kernel info:
; codeLenInByte = 908
; TotalNumSgprs: 26
; NumVgprs: 16
; ScratchSize: 0
; MemoryBound: 0
; FloatMode: 240
; IeeeMode: 1
; LDSByteSize: 0 bytes/workgroup (compile time only)
; SGPRBlocks: 0
; VGPRBlocks: 0
; NumSGPRsForWavesPerEU: 26
; NumVGPRsForWavesPerEU: 16
; NamedBarCnt: 0
; Occupancy: 16
; WaveLimiterHint : 1
; COMPUTE_PGM_RSRC2:SCRATCH_EN: 0
; COMPUTE_PGM_RSRC2:USER_SGPR: 2
; COMPUTE_PGM_RSRC2:TRAP_HANDLER: 0
; COMPUTE_PGM_RSRC2:TGID_X_EN: 1
; COMPUTE_PGM_RSRC2:TGID_Y_EN: 1
; COMPUTE_PGM_RSRC2:TGID_Z_EN: 1
; COMPUTE_PGM_RSRC2:TIDIG_COMP_CNT: 2
	.section	.text._Z10jaccard_jwILb1EfEviPKT0_S0_S2_S2_PS0_,"axG",@progbits,_Z10jaccard_jwILb1EfEviPKT0_S0_S2_S2_PS0_,comdat
	.protected	_Z10jaccard_jwILb1EfEviPKT0_S0_S2_S2_PS0_ ; -- Begin function _Z10jaccard_jwILb1EfEviPKT0_S0_S2_S2_PS0_
	.globl	_Z10jaccard_jwILb1EfEviPKT0_S0_S2_S2_PS0_
	.p2align	8
	.type	_Z10jaccard_jwILb1EfEviPKT0_S0_S2_S2_PS0_,@function
_Z10jaccard_jwILb1EfEviPKT0_S0_S2_S2_PS0_: ; @_Z10jaccard_jwILb1EfEviPKT0_S0_S2_S2_PS0_
; %bb.0:
	s_clause 0x1
	s_load_b32 s2, s[0:1], 0x3c
	s_load_b32 s11, s[0:1], 0x0
	s_bfe_u32 s3, ttmp6, 0x4000c
	s_and_b32 s4, ttmp6, 15
	s_add_co_i32 s3, s3, 1
	s_getreg_b32 s5, hwreg(HW_REG_IB_STS2, 6, 4)
	s_mul_i32 s3, ttmp9, s3
	s_mov_b32 s12, 0
	s_add_co_i32 s4, s4, s3
	s_wait_kmcnt 0x0
	s_and_b32 s13, s2, 0xffff
	s_cmp_eq_u32 s5, 0
	s_cselect_b32 s2, ttmp9, s4
	s_delay_alu instid0(SALU_CYCLE_1) | instskip(SKIP_1) | instid1(VALU_DEP_1)
	v_mad_u32 v0, s2, s13, v0
	s_mov_b32 s2, exec_lo
	v_cmpx_gt_i32_e64 s11, v0
	s_cbranch_execz .LBB4_3
; %bb.1:
	s_add_nc_u64 s[14:15], s[0:1], 48
	s_load_b32 s16, s[14:15], 0x0
	s_clause 0x2
	s_load_b96 s[8:10], s[0:1], 0x8
	s_load_b128 s[4:7], s[0:1], 0x18
	s_load_b64 s[2:3], s[0:1], 0x28
	s_wait_kmcnt 0x0
	s_mul_i32 s0, s16, s13
.LBB4_2:                                ; =>This Inner Loop Header: Depth=1
	s_clause 0x2
	global_load_b32 v1, v0, s[4:5] scale_offset
	global_load_b32 v2, v0, s[6:7] scale_offset
	;; [unrolled: 1-line block ×3, first 2 shown]
	s_wait_loadcnt 0x0
	v_dual_sub_f32 v2, v2, v1 :: v_dual_mul_f32 v3, s10, v3
	s_delay_alu instid0(VALU_DEP_1) | instskip(SKIP_1) | instid1(VALU_DEP_2)
	v_div_scale_f32 v4, null, v2, v2, v1
	v_div_scale_f32 v7, vcc_lo, v1, v2, v1
	v_rcp_f32_e32 v5, v4
	v_nop
	s_delay_alu instid0(TRANS32_DEP_1) | instskip(NEXT) | instid1(VALU_DEP_1)
	v_fma_f32 v6, -v4, v5, 1.0
	v_fmac_f32_e32 v5, v6, v5
	s_delay_alu instid0(VALU_DEP_1) | instskip(NEXT) | instid1(VALU_DEP_1)
	v_mul_f32_e32 v6, v7, v5
	v_fma_f32 v8, -v4, v6, v7
	s_delay_alu instid0(VALU_DEP_1) | instskip(NEXT) | instid1(VALU_DEP_1)
	v_fmac_f32_e32 v6, v8, v5
	v_fma_f32 v4, -v4, v6, v7
	s_delay_alu instid0(VALU_DEP_1) | instskip(NEXT) | instid1(VALU_DEP_1)
	v_div_fmas_f32 v4, v4, v5, v6
	v_div_fixup_f32 v1, v4, v2, v1
	s_delay_alu instid0(VALU_DEP_1) | instskip(SKIP_3) | instid1(VALU_DEP_1)
	v_mul_f32_e32 v1, v3, v1
	global_store_b32 v0, v1, s[2:3] scale_offset
	s_wait_xcnt 0x0
	v_add_nc_u32_e32 v0, s0, v0
	v_cmp_le_i32_e32 vcc_lo, s11, v0
	s_or_b32 s12, vcc_lo, s12
	s_delay_alu instid0(SALU_CYCLE_1)
	s_and_not1_b32 exec_lo, exec_lo, s12
	s_cbranch_execnz .LBB4_2
.LBB4_3:
	s_endpgm
	.section	.rodata,"a",@progbits
	.p2align	6, 0x0
	.amdhsa_kernel _Z10jaccard_jwILb1EfEviPKT0_S0_S2_S2_PS0_
		.amdhsa_group_segment_fixed_size 0
		.amdhsa_private_segment_fixed_size 0
		.amdhsa_kernarg_size 304
		.amdhsa_user_sgpr_count 2
		.amdhsa_user_sgpr_dispatch_ptr 0
		.amdhsa_user_sgpr_queue_ptr 0
		.amdhsa_user_sgpr_kernarg_segment_ptr 1
		.amdhsa_user_sgpr_dispatch_id 0
		.amdhsa_user_sgpr_kernarg_preload_length 0
		.amdhsa_user_sgpr_kernarg_preload_offset 0
		.amdhsa_user_sgpr_private_segment_size 0
		.amdhsa_wavefront_size32 1
		.amdhsa_uses_dynamic_stack 0
		.amdhsa_enable_private_segment 0
		.amdhsa_system_sgpr_workgroup_id_x 1
		.amdhsa_system_sgpr_workgroup_id_y 0
		.amdhsa_system_sgpr_workgroup_id_z 0
		.amdhsa_system_sgpr_workgroup_info 0
		.amdhsa_system_vgpr_workitem_id 0
		.amdhsa_next_free_vgpr 9
		.amdhsa_next_free_sgpr 17
		.amdhsa_named_barrier_count 0
		.amdhsa_reserve_vcc 1
		.amdhsa_float_round_mode_32 0
		.amdhsa_float_round_mode_16_64 0
		.amdhsa_float_denorm_mode_32 3
		.amdhsa_float_denorm_mode_16_64 3
		.amdhsa_fp16_overflow 0
		.amdhsa_memory_ordered 1
		.amdhsa_forward_progress 1
		.amdhsa_inst_pref_size 3
		.amdhsa_round_robin_scheduling 0
		.amdhsa_exception_fp_ieee_invalid_op 0
		.amdhsa_exception_fp_denorm_src 0
		.amdhsa_exception_fp_ieee_div_zero 0
		.amdhsa_exception_fp_ieee_overflow 0
		.amdhsa_exception_fp_ieee_underflow 0
		.amdhsa_exception_fp_ieee_inexact 0
		.amdhsa_exception_int_div_zero 0
	.end_amdhsa_kernel
	.section	.text._Z10jaccard_jwILb1EfEviPKT0_S0_S2_S2_PS0_,"axG",@progbits,_Z10jaccard_jwILb1EfEviPKT0_S0_S2_S2_PS0_,comdat
.Lfunc_end4:
	.size	_Z10jaccard_jwILb1EfEviPKT0_S0_S2_S2_PS0_, .Lfunc_end4-_Z10jaccard_jwILb1EfEviPKT0_S0_S2_S2_PS0_
                                        ; -- End function
	.set _Z10jaccard_jwILb1EfEviPKT0_S0_S2_S2_PS0_.num_vgpr, 9
	.set _Z10jaccard_jwILb1EfEviPKT0_S0_S2_S2_PS0_.num_agpr, 0
	.set _Z10jaccard_jwILb1EfEviPKT0_S0_S2_S2_PS0_.numbered_sgpr, 17
	.set _Z10jaccard_jwILb1EfEviPKT0_S0_S2_S2_PS0_.num_named_barrier, 0
	.set _Z10jaccard_jwILb1EfEviPKT0_S0_S2_S2_PS0_.private_seg_size, 0
	.set _Z10jaccard_jwILb1EfEviPKT0_S0_S2_S2_PS0_.uses_vcc, 1
	.set _Z10jaccard_jwILb1EfEviPKT0_S0_S2_S2_PS0_.uses_flat_scratch, 0
	.set _Z10jaccard_jwILb1EfEviPKT0_S0_S2_S2_PS0_.has_dyn_sized_stack, 0
	.set _Z10jaccard_jwILb1EfEviPKT0_S0_S2_S2_PS0_.has_recursion, 0
	.set _Z10jaccard_jwILb1EfEviPKT0_S0_S2_S2_PS0_.has_indirect_call, 0
	.section	.AMDGPU.csdata,"",@progbits
; Kernel info:
; codeLenInByte = 348
; TotalNumSgprs: 19
; NumVgprs: 9
; ScratchSize: 0
; MemoryBound: 0
; FloatMode: 240
; IeeeMode: 1
; LDSByteSize: 0 bytes/workgroup (compile time only)
; SGPRBlocks: 0
; VGPRBlocks: 0
; NumSGPRsForWavesPerEU: 19
; NumVGPRsForWavesPerEU: 9
; NamedBarCnt: 0
; Occupancy: 16
; WaveLimiterHint : 0
; COMPUTE_PGM_RSRC2:SCRATCH_EN: 0
; COMPUTE_PGM_RSRC2:USER_SGPR: 2
; COMPUTE_PGM_RSRC2:TRAP_HANDLER: 0
; COMPUTE_PGM_RSRC2:TGID_X_EN: 1
; COMPUTE_PGM_RSRC2:TGID_Y_EN: 0
; COMPUTE_PGM_RSRC2:TGID_Z_EN: 0
; COMPUTE_PGM_RSRC2:TIDIG_COMP_CNT: 0
	.section	.text._Z15jaccard_row_sumILb0EfEviPKiS1_PKT0_PS2_,"axG",@progbits,_Z15jaccard_row_sumILb0EfEviPKiS1_PKT0_PS2_,comdat
	.protected	_Z15jaccard_row_sumILb0EfEviPKiS1_PKT0_PS2_ ; -- Begin function _Z15jaccard_row_sumILb0EfEviPKiS1_PKT0_PS2_
	.globl	_Z15jaccard_row_sumILb0EfEviPKiS1_PKT0_PS2_
	.p2align	8
	.type	_Z15jaccard_row_sumILb0EfEviPKiS1_PKT0_PS2_,@function
_Z15jaccard_row_sumILb0EfEviPKiS1_PKT0_PS2_: ; @_Z15jaccard_row_sumILb0EfEviPKiS1_PKT0_PS2_
; %bb.0:
	s_clause 0x1
	s_load_u16 s8, s[0:1], 0x36
	s_load_b32 s6, s[0:1], 0x0
	s_bfe_u32 s2, ttmp6, 0x40010
	s_bfe_u32 s3, ttmp6, 0x40004
	s_add_co_i32 s2, s2, 1
	v_bfe_u32 v0, v0, 10, 10
	s_mul_i32 s2, ttmp7, s2
	s_mov_b32 s7, 0
	s_add_co_i32 s3, s3, s2
	s_getreg_b32 s2, hwreg(HW_REG_IB_STS2, 6, 4)
	s_delay_alu instid0(SALU_CYCLE_1) | instskip(SKIP_4) | instid1(VALU_DEP_1)
	s_cmp_eq_u32 s2, 0
	s_cselect_b32 s2, ttmp7, s3
	s_wait_kmcnt 0x0
	v_mad_u32 v0, s2, s8, v0
	s_mov_b32 s2, exec_lo
	v_cmpx_gt_i32_e64 s6, v0
	s_cbranch_execz .LBB5_3
; %bb.1:
	s_add_nc_u64 s[10:11], s[0:1], 40
	s_load_b32 s9, s[10:11], 0x4
	s_clause 0x1
	s_load_b64 s[2:3], s[0:1], 0x8
	s_load_b64 s[4:5], s[0:1], 0x20
	s_wait_kmcnt 0x0
	s_mul_i32 s0, s9, s8
.LBB5_2:                                ; =>This Inner Loop Header: Depth=1
	v_ashrrev_i32_e32 v1, 31, v0
	s_delay_alu instid0(VALU_DEP_1) | instskip(SKIP_3) | instid1(VALU_DEP_1)
	v_lshl_add_u64 v[2:3], v[0:1], 2, s[2:3]
	global_load_b64 v[2:3], v[2:3], off
	s_wait_loadcnt 0x0
	v_sub_nc_u32_e32 v1, v3, v2
	v_cvt_f32_i32_e32 v1, v1
	global_store_b32 v0, v1, s[4:5] scale_offset
	s_wait_xcnt 0x0
	v_add_nc_u32_e32 v0, s0, v0
	s_delay_alu instid0(VALU_DEP_1) | instskip(SKIP_1) | instid1(SALU_CYCLE_1)
	v_cmp_le_i32_e32 vcc_lo, s6, v0
	s_or_b32 s7, vcc_lo, s7
	s_and_not1_b32 exec_lo, exec_lo, s7
	s_cbranch_execnz .LBB5_2
.LBB5_3:
	s_endpgm
	.section	.rodata,"a",@progbits
	.p2align	6, 0x0
	.amdhsa_kernel _Z15jaccard_row_sumILb0EfEviPKiS1_PKT0_PS2_
		.amdhsa_group_segment_fixed_size 0
		.amdhsa_private_segment_fixed_size 0
		.amdhsa_kernarg_size 296
		.amdhsa_user_sgpr_count 2
		.amdhsa_user_sgpr_dispatch_ptr 0
		.amdhsa_user_sgpr_queue_ptr 0
		.amdhsa_user_sgpr_kernarg_segment_ptr 1
		.amdhsa_user_sgpr_dispatch_id 0
		.amdhsa_user_sgpr_kernarg_preload_length 0
		.amdhsa_user_sgpr_kernarg_preload_offset 0
		.amdhsa_user_sgpr_private_segment_size 0
		.amdhsa_wavefront_size32 1
		.amdhsa_uses_dynamic_stack 0
		.amdhsa_enable_private_segment 0
		.amdhsa_system_sgpr_workgroup_id_x 1
		.amdhsa_system_sgpr_workgroup_id_y 1
		.amdhsa_system_sgpr_workgroup_id_z 0
		.amdhsa_system_sgpr_workgroup_info 0
		.amdhsa_system_vgpr_workitem_id 1
		.amdhsa_next_free_vgpr 4
		.amdhsa_next_free_sgpr 12
		.amdhsa_named_barrier_count 0
		.amdhsa_reserve_vcc 1
		.amdhsa_float_round_mode_32 0
		.amdhsa_float_round_mode_16_64 0
		.amdhsa_float_denorm_mode_32 3
		.amdhsa_float_denorm_mode_16_64 3
		.amdhsa_fp16_overflow 0
		.amdhsa_memory_ordered 1
		.amdhsa_forward_progress 1
		.amdhsa_inst_pref_size 2
		.amdhsa_round_robin_scheduling 0
		.amdhsa_exception_fp_ieee_invalid_op 0
		.amdhsa_exception_fp_denorm_src 0
		.amdhsa_exception_fp_ieee_div_zero 0
		.amdhsa_exception_fp_ieee_overflow 0
		.amdhsa_exception_fp_ieee_underflow 0
		.amdhsa_exception_fp_ieee_inexact 0
		.amdhsa_exception_int_div_zero 0
	.end_amdhsa_kernel
	.section	.text._Z15jaccard_row_sumILb0EfEviPKiS1_PKT0_PS2_,"axG",@progbits,_Z15jaccard_row_sumILb0EfEviPKiS1_PKT0_PS2_,comdat
.Lfunc_end5:
	.size	_Z15jaccard_row_sumILb0EfEviPKiS1_PKT0_PS2_, .Lfunc_end5-_Z15jaccard_row_sumILb0EfEviPKiS1_PKT0_PS2_
                                        ; -- End function
	.set _Z15jaccard_row_sumILb0EfEviPKiS1_PKT0_PS2_.num_vgpr, 4
	.set _Z15jaccard_row_sumILb0EfEviPKiS1_PKT0_PS2_.num_agpr, 0
	.set _Z15jaccard_row_sumILb0EfEviPKiS1_PKT0_PS2_.numbered_sgpr, 12
	.set _Z15jaccard_row_sumILb0EfEviPKiS1_PKT0_PS2_.num_named_barrier, 0
	.set _Z15jaccard_row_sumILb0EfEviPKiS1_PKT0_PS2_.private_seg_size, 0
	.set _Z15jaccard_row_sumILb0EfEviPKiS1_PKT0_PS2_.uses_vcc, 1
	.set _Z15jaccard_row_sumILb0EfEviPKiS1_PKT0_PS2_.uses_flat_scratch, 0
	.set _Z15jaccard_row_sumILb0EfEviPKiS1_PKT0_PS2_.has_dyn_sized_stack, 0
	.set _Z15jaccard_row_sumILb0EfEviPKiS1_PKT0_PS2_.has_recursion, 0
	.set _Z15jaccard_row_sumILb0EfEviPKiS1_PKT0_PS2_.has_indirect_call, 0
	.section	.AMDGPU.csdata,"",@progbits
; Kernel info:
; codeLenInByte = 228
; TotalNumSgprs: 14
; NumVgprs: 4
; ScratchSize: 0
; MemoryBound: 0
; FloatMode: 240
; IeeeMode: 1
; LDSByteSize: 0 bytes/workgroup (compile time only)
; SGPRBlocks: 0
; VGPRBlocks: 0
; NumSGPRsForWavesPerEU: 14
; NumVGPRsForWavesPerEU: 4
; NamedBarCnt: 0
; Occupancy: 16
; WaveLimiterHint : 0
; COMPUTE_PGM_RSRC2:SCRATCH_EN: 0
; COMPUTE_PGM_RSRC2:USER_SGPR: 2
; COMPUTE_PGM_RSRC2:TRAP_HANDLER: 0
; COMPUTE_PGM_RSRC2:TGID_X_EN: 1
; COMPUTE_PGM_RSRC2:TGID_Y_EN: 1
; COMPUTE_PGM_RSRC2:TGID_Z_EN: 0
; COMPUTE_PGM_RSRC2:TIDIG_COMP_CNT: 1
	.section	.text._Z14jaccard_is_optILb0EfEviiPKiS1_PKT0_S4_PS2_S5_,"axG",@progbits,_Z14jaccard_is_optILb0EfEviiPKiS1_PKT0_S4_PS2_S5_,comdat
	.protected	_Z14jaccard_is_optILb0EfEviiPKiS1_PKT0_S4_PS2_S5_ ; -- Begin function _Z14jaccard_is_optILb0EfEviiPKiS1_PKT0_S4_PS2_S5_
	.globl	_Z14jaccard_is_optILb0EfEviiPKiS1_PKT0_S4_PS2_S5_
	.p2align	8
	.type	_Z14jaccard_is_optILb0EfEviiPKiS1_PKT0_S4_PS2_S5_,@function
_Z14jaccard_is_optILb0EfEviiPKiS1_PKT0_S4_PS2_S5_: ; @_Z14jaccard_is_optILb0EfEviiPKiS1_PKT0_S4_PS2_S5_
; %bb.0:
	s_clause 0x1
	s_load_b32 s2, s[0:1], 0x48
	s_load_b32 s12, s[0:1], 0x0
	s_bfe_u32 s3, ttmp6, 0x40014
	s_lshr_b32 s4, ttmp7, 16
	s_add_co_i32 s3, s3, 1
	s_bfe_u32 s5, ttmp6, 0x40008
	s_mul_i32 s3, s4, s3
	s_getreg_b32 s14, hwreg(HW_REG_IB_STS2, 6, 4)
	s_add_co_i32 s5, s5, s3
	v_bfe_u32 v1, v0, 20, 10
	s_mov_b32 s13, 0
	s_wait_kmcnt 0x0
	s_and_b32 s15, s2, 0xffff
	s_cmp_eq_u32 s14, 0
	s_cselect_b32 s2, s4, s5
	s_delay_alu instid0(SALU_CYCLE_1) | instskip(SKIP_1) | instid1(VALU_DEP_1)
	v_mad_u32 v2, s2, s15, v1
	s_mov_b32 s2, exec_lo
	v_cmpx_gt_i32_e64 s12, v2
	s_cbranch_execz .LBB6_21
; %bb.1:
	s_add_nc_u64 s[2:3], s[0:1], 56
	s_and_b32 s19, ttmp7, 0xffff
	s_clause 0x1
	s_load_u16 s18, s[2:3], 0xe
	s_load_b64 s[16:17], s[2:3], 0x4
	s_clause 0x1
	s_load_b128 s[4:7], s[0:1], 0x8
	s_load_b128 s[8:11], s[0:1], 0x20
	s_wait_xcnt 0x0
	s_bfe_u32 s2, ttmp6, 0x40010
	v_bfe_u32 v1, v0, 10, 10
	s_add_co_i32 s20, s2, 1
	s_load_b64 s[2:3], s[0:1], 0x30
	s_wait_xcnt 0x0
	s_mul_i32 s0, s19, s20
	s_bfe_u32 s1, ttmp6, 0x40004
	v_and_b32_e32 v0, 0x3ff, v0
	s_add_co_i32 s1, s1, s0
	s_cmp_eq_u32 s14, 0
	s_cselect_b32 s0, s19, s1
	s_delay_alu instid0(VALU_DEP_1)
	v_cmp_eq_u32_e32 vcc_lo, 0, v0
	s_wait_kmcnt 0x0
	v_mad_u32 v10, s0, s18, v1
	s_mul_i32 s14, s16, s18
	s_mul_i32 s15, s17, s15
	s_branch .LBB6_3
.LBB6_2:                                ;   in Loop: Header=BB6_3 Depth=1
	s_or_b32 exec_lo, exec_lo, s16
	v_add_nc_u32_e32 v2, s15, v2
	s_delay_alu instid0(VALU_DEP_1) | instskip(SKIP_1) | instid1(SALU_CYCLE_1)
	v_cmp_le_i32_e64 s0, s12, v2
	s_or_b32 s13, s0, s13
	s_and_not1_b32 exec_lo, exec_lo, s13
	s_cbranch_execz .LBB6_21
.LBB6_3:                                ; =>This Loop Header: Depth=1
                                        ;     Child Loop BB6_6 Depth 2
                                        ;       Child Loop BB6_10 Depth 3
	v_ashrrev_i32_e32 v3, 31, v2
	s_mov_b32 s16, exec_lo
	s_delay_alu instid0(VALU_DEP_1) | instskip(SKIP_4) | instid1(VALU_DEP_1)
	v_lshl_add_u64 v[0:1], v[2:3], 2, s[4:5]
	global_load_b64 v[0:1], v[0:1], off
	s_wait_loadcnt 0x0
	v_add_nc_u32_e32 v4, v0, v10
	s_wait_xcnt 0x0
	v_cmpx_lt_i32_e64 v4, v1
	s_cbranch_execz .LBB6_2
; %bb.4:                                ;   in Loop: Header=BB6_3 Depth=1
	v_lshl_add_u64 v[6:7], v[2:3], 2, s[8:9]
	v_sub_nc_u32_e32 v0, v1, v0
	s_mov_b32 s17, 0
	global_load_b32 v3, v[6:7], off
	s_branch .LBB6_6
.LBB6_5:                                ;   in Loop: Header=BB6_6 Depth=2
	s_wait_xcnt 0x0
	s_or_b32 exec_lo, exec_lo, s18
	v_add_nc_u32_e32 v4, s14, v4
	s_delay_alu instid0(VALU_DEP_1) | instskip(SKIP_1) | instid1(SALU_CYCLE_1)
	v_cmp_ge_i32_e64 s0, v4, v1
	s_or_b32 s17, s0, s17
	s_and_not1_b32 exec_lo, exec_lo, s17
	s_cbranch_execz .LBB6_2
.LBB6_6:                                ;   Parent Loop BB6_3 Depth=1
                                        ; =>  This Loop Header: Depth=2
                                        ;       Child Loop BB6_10 Depth 3
	global_load_b32 v6, v4, s[6:7] scale_offset
	s_wait_loadcnt 0x0
	global_load_b32 v5, v6, s[8:9] scale_offset
	s_wait_loadcnt 0x0
	v_dual_add_f32 v7, v3, v5 :: v_dual_ashrrev_i32 v5, 31, v4
	global_store_b32 v4, v7, s[2:3] scale_offset
	s_wait_xcnt 0x0
	s_and_saveexec_b32 s18, vcc_lo
	s_cbranch_execz .LBB6_5
; %bb.7:                                ;   in Loop: Header=BB6_6 Depth=2
	v_dual_ashrrev_i32 v7, 31, v6 :: v_dual_mov_b32 v11, 0
	s_delay_alu instid0(VALU_DEP_1) | instskip(SKIP_3) | instid1(VALU_DEP_1)
	v_lshl_add_u64 v[8:9], v[6:7], 2, s[4:5]
	global_load_b64 v[8:9], v[8:9], off
	s_wait_loadcnt 0x0
	v_sub_nc_u32_e32 v7, v9, v8
	v_cmp_lt_i32_e64 s0, v0, v7
	s_wait_xcnt 0x0
	s_delay_alu instid0(VALU_DEP_1) | instskip(NEXT) | instid1(VALU_DEP_1)
	v_cndmask_b32_e64 v8, v2, v6, s0
	v_dual_cndmask_b32 v6, v6, v2, s0 :: v_dual_ashrrev_i32 v9, 31, v8
	s_delay_alu instid0(VALU_DEP_1) | instskip(NEXT) | instid1(VALU_DEP_2)
	v_ashrrev_i32_e32 v7, 31, v6
	v_lshl_add_u64 v[14:15], v[8:9], 2, s[4:5]
	s_delay_alu instid0(VALU_DEP_2)
	v_lshl_add_u64 v[12:13], v[6:7], 2, s[4:5]
	s_clause 0x1
	global_load_b64 v[6:7], v[12:13], off
	global_load_b64 v[8:9], v[14:15], off
	s_wait_loadcnt 0x1
	v_cmp_lt_i32_e64 s0, v6, v7
	s_wait_loadcnt 0x0
	v_cmp_lt_i32_e64 s1, v8, v9
	s_and_b32 s0, s0, s1
	s_wait_xcnt 0x0
	s_and_saveexec_b32 s19, s0
	s_cbranch_execz .LBB6_19
; %bb.8:                                ;   in Loop: Header=BB6_6 Depth=2
	v_mov_b32_e32 v11, 0
	s_mov_b32 s20, 0
	s_branch .LBB6_10
.LBB6_9:                                ;   in Loop: Header=BB6_10 Depth=3
	s_or_b32 exec_lo, exec_lo, s0
	s_delay_alu instid0(VALU_DEP_1) | instskip(NEXT) | instid1(VALU_DEP_2)
	v_cmp_ge_i32_e64 s0, v6, v7
	v_cmp_ge_i32_e64 s1, v8, v9
	s_or_b32 s0, s0, s1
	s_delay_alu instid0(SALU_CYCLE_1) | instskip(NEXT) | instid1(SALU_CYCLE_1)
	s_and_b32 s0, exec_lo, s0
	s_or_b32 s20, s0, s20
	s_delay_alu instid0(SALU_CYCLE_1)
	s_and_not1_b32 exec_lo, exec_lo, s20
	s_cbranch_execz .LBB6_18
.LBB6_10:                               ;   Parent Loop BB6_3 Depth=1
                                        ;     Parent Loop BB6_6 Depth=2
                                        ; =>    This Inner Loop Header: Depth=3
	s_clause 0x1
	global_load_b32 v12, v6, s[6:7] scale_offset
	global_load_b32 v13, v8, s[6:7] scale_offset
	s_mov_b32 s1, exec_lo
	s_wait_loadcnt 0x0
	v_cmpx_ne_u32_e64 v12, v13
	s_xor_b32 s1, exec_lo, s1
	s_cbranch_execz .LBB6_16
; %bb.11:                               ;   in Loop: Header=BB6_10 Depth=3
	v_cmp_ge_i32_e64 s0, v12, v13
	s_and_saveexec_b32 s21, s0
	s_delay_alu instid0(SALU_CYCLE_1)
	s_xor_b32 s0, exec_lo, s21
; %bb.12:                               ;   in Loop: Header=BB6_10 Depth=3
	v_add_nc_u32_e32 v8, 1, v8
; %bb.13:                               ;   in Loop: Header=BB6_10 Depth=3
	s_and_not1_saveexec_b32 s0, s0
; %bb.14:                               ;   in Loop: Header=BB6_10 Depth=3
	v_add_nc_u32_e32 v6, 1, v6
; %bb.15:                               ;   in Loop: Header=BB6_10 Depth=3
	s_or_b32 exec_lo, exec_lo, s0
.LBB6_16:                               ;   in Loop: Header=BB6_10 Depth=3
	s_and_not1_saveexec_b32 s0, s1
	s_cbranch_execz .LBB6_9
; %bb.17:                               ;   in Loop: Header=BB6_10 Depth=3
	s_delay_alu instid0(VALU_DEP_1)
	v_dual_add_f32 v11, 1.0, v11 :: v_dual_add_nc_u32 v6, 1, v6
	v_add_nc_u32_e32 v8, 1, v8
	s_branch .LBB6_9
.LBB6_18:                               ;   in Loop: Header=BB6_6 Depth=2
	s_or_b32 exec_lo, exec_lo, s20
.LBB6_19:                               ;   in Loop: Header=BB6_6 Depth=2
	s_delay_alu instid0(SALU_CYCLE_1)
	s_or_b32 exec_lo, exec_lo, s19
	v_cmp_neq_f32_e64 s0, 0, v11
	s_and_b32 exec_lo, exec_lo, s0
	s_cbranch_execz .LBB6_5
; %bb.20:                               ;   in Loop: Header=BB6_6 Depth=2
	v_lshl_add_u64 v[6:7], v[4:5], 2, s[10:11]
	global_atomic_add_f32 v[6:7], v11, off scope:SCOPE_DEV
	s_branch .LBB6_5
.LBB6_21:
	s_endpgm
	.section	.rodata,"a",@progbits
	.p2align	6, 0x0
	.amdhsa_kernel _Z14jaccard_is_optILb0EfEviiPKiS1_PKT0_S4_PS2_S5_
		.amdhsa_group_segment_fixed_size 0
		.amdhsa_private_segment_fixed_size 0
		.amdhsa_kernarg_size 312
		.amdhsa_user_sgpr_count 2
		.amdhsa_user_sgpr_dispatch_ptr 0
		.amdhsa_user_sgpr_queue_ptr 0
		.amdhsa_user_sgpr_kernarg_segment_ptr 1
		.amdhsa_user_sgpr_dispatch_id 0
		.amdhsa_user_sgpr_kernarg_preload_length 0
		.amdhsa_user_sgpr_kernarg_preload_offset 0
		.amdhsa_user_sgpr_private_segment_size 0
		.amdhsa_wavefront_size32 1
		.amdhsa_uses_dynamic_stack 0
		.amdhsa_enable_private_segment 0
		.amdhsa_system_sgpr_workgroup_id_x 1
		.amdhsa_system_sgpr_workgroup_id_y 1
		.amdhsa_system_sgpr_workgroup_id_z 1
		.amdhsa_system_sgpr_workgroup_info 0
		.amdhsa_system_vgpr_workitem_id 2
		.amdhsa_next_free_vgpr 16
		.amdhsa_next_free_sgpr 22
		.amdhsa_named_barrier_count 0
		.amdhsa_reserve_vcc 1
		.amdhsa_float_round_mode_32 0
		.amdhsa_float_round_mode_16_64 0
		.amdhsa_float_denorm_mode_32 3
		.amdhsa_float_denorm_mode_16_64 3
		.amdhsa_fp16_overflow 0
		.amdhsa_memory_ordered 1
		.amdhsa_forward_progress 1
		.amdhsa_inst_pref_size 8
		.amdhsa_round_robin_scheduling 0
		.amdhsa_exception_fp_ieee_invalid_op 0
		.amdhsa_exception_fp_denorm_src 0
		.amdhsa_exception_fp_ieee_div_zero 0
		.amdhsa_exception_fp_ieee_overflow 0
		.amdhsa_exception_fp_ieee_underflow 0
		.amdhsa_exception_fp_ieee_inexact 0
		.amdhsa_exception_int_div_zero 0
	.end_amdhsa_kernel
	.section	.text._Z14jaccard_is_optILb0EfEviiPKiS1_PKT0_S4_PS2_S5_,"axG",@progbits,_Z14jaccard_is_optILb0EfEviiPKiS1_PKT0_S4_PS2_S5_,comdat
.Lfunc_end6:
	.size	_Z14jaccard_is_optILb0EfEviiPKiS1_PKT0_S4_PS2_S5_, .Lfunc_end6-_Z14jaccard_is_optILb0EfEviiPKiS1_PKT0_S4_PS2_S5_
                                        ; -- End function
	.set _Z14jaccard_is_optILb0EfEviiPKiS1_PKT0_S4_PS2_S5_.num_vgpr, 16
	.set _Z14jaccard_is_optILb0EfEviiPKiS1_PKT0_S4_PS2_S5_.num_agpr, 0
	.set _Z14jaccard_is_optILb0EfEviiPKiS1_PKT0_S4_PS2_S5_.numbered_sgpr, 22
	.set _Z14jaccard_is_optILb0EfEviiPKiS1_PKT0_S4_PS2_S5_.num_named_barrier, 0
	.set _Z14jaccard_is_optILb0EfEviiPKiS1_PKT0_S4_PS2_S5_.private_seg_size, 0
	.set _Z14jaccard_is_optILb0EfEviiPKiS1_PKT0_S4_PS2_S5_.uses_vcc, 1
	.set _Z14jaccard_is_optILb0EfEviiPKiS1_PKT0_S4_PS2_S5_.uses_flat_scratch, 0
	.set _Z14jaccard_is_optILb0EfEviiPKiS1_PKT0_S4_PS2_S5_.has_dyn_sized_stack, 0
	.set _Z14jaccard_is_optILb0EfEviiPKiS1_PKT0_S4_PS2_S5_.has_recursion, 0
	.set _Z14jaccard_is_optILb0EfEviiPKiS1_PKT0_S4_PS2_S5_.has_indirect_call, 0
	.section	.AMDGPU.csdata,"",@progbits
; Kernel info:
; codeLenInByte = 904
; TotalNumSgprs: 24
; NumVgprs: 16
; ScratchSize: 0
; MemoryBound: 0
; FloatMode: 240
; IeeeMode: 1
; LDSByteSize: 0 bytes/workgroup (compile time only)
; SGPRBlocks: 0
; VGPRBlocks: 0
; NumSGPRsForWavesPerEU: 24
; NumVGPRsForWavesPerEU: 16
; NamedBarCnt: 0
; Occupancy: 16
; WaveLimiterHint : 1
; COMPUTE_PGM_RSRC2:SCRATCH_EN: 0
; COMPUTE_PGM_RSRC2:USER_SGPR: 2
; COMPUTE_PGM_RSRC2:TRAP_HANDLER: 0
; COMPUTE_PGM_RSRC2:TGID_X_EN: 1
; COMPUTE_PGM_RSRC2:TGID_Y_EN: 1
; COMPUTE_PGM_RSRC2:TGID_Z_EN: 1
; COMPUTE_PGM_RSRC2:TIDIG_COMP_CNT: 2
	.section	.text._Z10jaccard_jwILb0EfEviPKT0_S0_S2_S2_PS0_,"axG",@progbits,_Z10jaccard_jwILb0EfEviPKT0_S0_S2_S2_PS0_,comdat
	.protected	_Z10jaccard_jwILb0EfEviPKT0_S0_S2_S2_PS0_ ; -- Begin function _Z10jaccard_jwILb0EfEviPKT0_S0_S2_S2_PS0_
	.globl	_Z10jaccard_jwILb0EfEviPKT0_S0_S2_S2_PS0_
	.p2align	8
	.type	_Z10jaccard_jwILb0EfEviPKT0_S0_S2_S2_PS0_,@function
_Z10jaccard_jwILb0EfEviPKT0_S0_S2_S2_PS0_: ; @_Z10jaccard_jwILb0EfEviPKT0_S0_S2_S2_PS0_
; %bb.0:
	s_clause 0x1
	s_load_b32 s2, s[0:1], 0x3c
	s_load_b32 s11, s[0:1], 0x0
	s_bfe_u32 s3, ttmp6, 0x4000c
	s_and_b32 s4, ttmp6, 15
	s_add_co_i32 s3, s3, 1
	s_getreg_b32 s5, hwreg(HW_REG_IB_STS2, 6, 4)
	s_mul_i32 s3, ttmp9, s3
	s_mov_b32 s12, 0
	s_add_co_i32 s4, s4, s3
	s_wait_kmcnt 0x0
	s_and_b32 s13, s2, 0xffff
	s_cmp_eq_u32 s5, 0
	s_cselect_b32 s2, ttmp9, s4
	s_delay_alu instid0(SALU_CYCLE_1) | instskip(SKIP_1) | instid1(VALU_DEP_1)
	v_mad_u32 v0, s2, s13, v0
	s_mov_b32 s2, exec_lo
	v_cmpx_gt_i32_e64 s11, v0
	s_cbranch_execz .LBB7_3
; %bb.1:
	s_add_nc_u64 s[14:15], s[0:1], 48
	s_load_b32 s16, s[14:15], 0x0
	s_clause 0x2
	s_load_b96 s[8:10], s[0:1], 0x8
	s_load_b128 s[4:7], s[0:1], 0x18
	s_load_b64 s[2:3], s[0:1], 0x28
	s_wait_kmcnt 0x0
	s_mul_i32 s0, s16, s13
.LBB7_2:                                ; =>This Inner Loop Header: Depth=1
	s_clause 0x2
	global_load_b32 v1, v0, s[4:5] scale_offset
	global_load_b32 v2, v0, s[6:7] scale_offset
	;; [unrolled: 1-line block ×3, first 2 shown]
	s_wait_loadcnt 0x0
	v_dual_sub_f32 v2, v2, v1 :: v_dual_mul_f32 v3, s10, v3
	s_delay_alu instid0(VALU_DEP_1) | instskip(SKIP_1) | instid1(VALU_DEP_2)
	v_div_scale_f32 v4, null, v2, v2, v1
	v_div_scale_f32 v7, vcc_lo, v1, v2, v1
	v_rcp_f32_e32 v5, v4
	v_nop
	s_delay_alu instid0(TRANS32_DEP_1) | instskip(NEXT) | instid1(VALU_DEP_1)
	v_fma_f32 v6, -v4, v5, 1.0
	v_fmac_f32_e32 v5, v6, v5
	s_delay_alu instid0(VALU_DEP_1) | instskip(NEXT) | instid1(VALU_DEP_1)
	v_mul_f32_e32 v6, v7, v5
	v_fma_f32 v8, -v4, v6, v7
	s_delay_alu instid0(VALU_DEP_1) | instskip(NEXT) | instid1(VALU_DEP_1)
	v_fmac_f32_e32 v6, v8, v5
	v_fma_f32 v4, -v4, v6, v7
	s_delay_alu instid0(VALU_DEP_1) | instskip(NEXT) | instid1(VALU_DEP_1)
	v_div_fmas_f32 v4, v4, v5, v6
	v_div_fixup_f32 v1, v4, v2, v1
	s_delay_alu instid0(VALU_DEP_1) | instskip(SKIP_3) | instid1(VALU_DEP_1)
	v_mul_f32_e32 v1, v3, v1
	global_store_b32 v0, v1, s[2:3] scale_offset
	s_wait_xcnt 0x0
	v_add_nc_u32_e32 v0, s0, v0
	v_cmp_le_i32_e32 vcc_lo, s11, v0
	s_or_b32 s12, vcc_lo, s12
	s_delay_alu instid0(SALU_CYCLE_1)
	s_and_not1_b32 exec_lo, exec_lo, s12
	s_cbranch_execnz .LBB7_2
.LBB7_3:
	s_endpgm
	.section	.rodata,"a",@progbits
	.p2align	6, 0x0
	.amdhsa_kernel _Z10jaccard_jwILb0EfEviPKT0_S0_S2_S2_PS0_
		.amdhsa_group_segment_fixed_size 0
		.amdhsa_private_segment_fixed_size 0
		.amdhsa_kernarg_size 304
		.amdhsa_user_sgpr_count 2
		.amdhsa_user_sgpr_dispatch_ptr 0
		.amdhsa_user_sgpr_queue_ptr 0
		.amdhsa_user_sgpr_kernarg_segment_ptr 1
		.amdhsa_user_sgpr_dispatch_id 0
		.amdhsa_user_sgpr_kernarg_preload_length 0
		.amdhsa_user_sgpr_kernarg_preload_offset 0
		.amdhsa_user_sgpr_private_segment_size 0
		.amdhsa_wavefront_size32 1
		.amdhsa_uses_dynamic_stack 0
		.amdhsa_enable_private_segment 0
		.amdhsa_system_sgpr_workgroup_id_x 1
		.amdhsa_system_sgpr_workgroup_id_y 0
		.amdhsa_system_sgpr_workgroup_id_z 0
		.amdhsa_system_sgpr_workgroup_info 0
		.amdhsa_system_vgpr_workitem_id 0
		.amdhsa_next_free_vgpr 9
		.amdhsa_next_free_sgpr 17
		.amdhsa_named_barrier_count 0
		.amdhsa_reserve_vcc 1
		.amdhsa_float_round_mode_32 0
		.amdhsa_float_round_mode_16_64 0
		.amdhsa_float_denorm_mode_32 3
		.amdhsa_float_denorm_mode_16_64 3
		.amdhsa_fp16_overflow 0
		.amdhsa_memory_ordered 1
		.amdhsa_forward_progress 1
		.amdhsa_inst_pref_size 3
		.amdhsa_round_robin_scheduling 0
		.amdhsa_exception_fp_ieee_invalid_op 0
		.amdhsa_exception_fp_denorm_src 0
		.amdhsa_exception_fp_ieee_div_zero 0
		.amdhsa_exception_fp_ieee_overflow 0
		.amdhsa_exception_fp_ieee_underflow 0
		.amdhsa_exception_fp_ieee_inexact 0
		.amdhsa_exception_int_div_zero 0
	.end_amdhsa_kernel
	.section	.text._Z10jaccard_jwILb0EfEviPKT0_S0_S2_S2_PS0_,"axG",@progbits,_Z10jaccard_jwILb0EfEviPKT0_S0_S2_S2_PS0_,comdat
.Lfunc_end7:
	.size	_Z10jaccard_jwILb0EfEviPKT0_S0_S2_S2_PS0_, .Lfunc_end7-_Z10jaccard_jwILb0EfEviPKT0_S0_S2_S2_PS0_
                                        ; -- End function
	.set _Z10jaccard_jwILb0EfEviPKT0_S0_S2_S2_PS0_.num_vgpr, 9
	.set _Z10jaccard_jwILb0EfEviPKT0_S0_S2_S2_PS0_.num_agpr, 0
	.set _Z10jaccard_jwILb0EfEviPKT0_S0_S2_S2_PS0_.numbered_sgpr, 17
	.set _Z10jaccard_jwILb0EfEviPKT0_S0_S2_S2_PS0_.num_named_barrier, 0
	.set _Z10jaccard_jwILb0EfEviPKT0_S0_S2_S2_PS0_.private_seg_size, 0
	.set _Z10jaccard_jwILb0EfEviPKT0_S0_S2_S2_PS0_.uses_vcc, 1
	.set _Z10jaccard_jwILb0EfEviPKT0_S0_S2_S2_PS0_.uses_flat_scratch, 0
	.set _Z10jaccard_jwILb0EfEviPKT0_S0_S2_S2_PS0_.has_dyn_sized_stack, 0
	.set _Z10jaccard_jwILb0EfEviPKT0_S0_S2_S2_PS0_.has_recursion, 0
	.set _Z10jaccard_jwILb0EfEviPKT0_S0_S2_S2_PS0_.has_indirect_call, 0
	.section	.AMDGPU.csdata,"",@progbits
; Kernel info:
; codeLenInByte = 348
; TotalNumSgprs: 19
; NumVgprs: 9
; ScratchSize: 0
; MemoryBound: 0
; FloatMode: 240
; IeeeMode: 1
; LDSByteSize: 0 bytes/workgroup (compile time only)
; SGPRBlocks: 0
; VGPRBlocks: 0
; NumSGPRsForWavesPerEU: 19
; NumVGPRsForWavesPerEU: 9
; NamedBarCnt: 0
; Occupancy: 16
; WaveLimiterHint : 0
; COMPUTE_PGM_RSRC2:SCRATCH_EN: 0
; COMPUTE_PGM_RSRC2:USER_SGPR: 2
; COMPUTE_PGM_RSRC2:TRAP_HANDLER: 0
; COMPUTE_PGM_RSRC2:TGID_X_EN: 1
; COMPUTE_PGM_RSRC2:TGID_Y_EN: 0
; COMPUTE_PGM_RSRC2:TGID_Z_EN: 0
; COMPUTE_PGM_RSRC2:TIDIG_COMP_CNT: 0
	.section	.AMDGPU.gpr_maximums,"",@progbits
	.set amdgpu.max_num_vgpr, 0
	.set amdgpu.max_num_agpr, 0
	.set amdgpu.max_num_sgpr, 0
	.section	.AMDGPU.csdata,"",@progbits
	.type	__hip_cuid_9a5e85da18c3384f,@object ; @__hip_cuid_9a5e85da18c3384f
	.section	.bss,"aw",@nobits
	.globl	__hip_cuid_9a5e85da18c3384f
__hip_cuid_9a5e85da18c3384f:
	.byte	0                               ; 0x0
	.size	__hip_cuid_9a5e85da18c3384f, 1

	.ident	"AMD clang version 22.0.0git (https://github.com/RadeonOpenCompute/llvm-project roc-7.2.4 26084 f58b06dce1f9c15707c5f808fd002e18c2accf7e)"
	.section	".note.GNU-stack","",@progbits
	.addrsig
	.addrsig_sym __hip_cuid_9a5e85da18c3384f
	.amdgpu_metadata
---
amdhsa.kernels:
  - .args:
      - .offset:         0
        .size:           4
        .value_kind:     by_value
      - .address_space:  global
        .offset:         8
        .size:           8
        .value_kind:     global_buffer
      - .offset:         16
        .size:           4
        .value_kind:     by_value
      - .offset:         24
        .size:           4
        .value_kind:     hidden_block_count_x
      - .offset:         28
        .size:           4
        .value_kind:     hidden_block_count_y
      - .offset:         32
        .size:           4
        .value_kind:     hidden_block_count_z
      - .offset:         36
        .size:           2
        .value_kind:     hidden_group_size_x
      - .offset:         38
        .size:           2
        .value_kind:     hidden_group_size_y
      - .offset:         40
        .size:           2
        .value_kind:     hidden_group_size_z
      - .offset:         42
        .size:           2
        .value_kind:     hidden_remainder_x
      - .offset:         44
        .size:           2
        .value_kind:     hidden_remainder_y
      - .offset:         46
        .size:           2
        .value_kind:     hidden_remainder_z
      - .offset:         64
        .size:           8
        .value_kind:     hidden_global_offset_x
      - .offset:         72
        .size:           8
        .value_kind:     hidden_global_offset_y
      - .offset:         80
        .size:           8
        .value_kind:     hidden_global_offset_z
      - .offset:         88
        .size:           2
        .value_kind:     hidden_grid_dims
    .group_segment_fixed_size: 0
    .kernarg_segment_align: 8
    .kernarg_segment_size: 280
    .language:       OpenCL C
    .language_version:
      - 2
      - 0
    .max_flat_workgroup_size: 1024
    .name:           _Z4fillILb1EfEviPT0_S0_
    .private_segment_fixed_size: 0
    .sgpr_count:     12
    .sgpr_spill_count: 0
    .symbol:         _Z4fillILb1EfEviPT0_S0_.kd
    .uniform_work_group_size: 1
    .uses_dynamic_stack: false
    .vgpr_count:     7
    .vgpr_spill_count: 0
    .wavefront_size: 32
  - .args:
      - .offset:         0
        .size:           4
        .value_kind:     by_value
      - .address_space:  global
        .offset:         8
        .size:           8
        .value_kind:     global_buffer
      - .offset:         16
        .size:           4
        .value_kind:     by_value
      - .offset:         24
        .size:           4
        .value_kind:     hidden_block_count_x
      - .offset:         28
        .size:           4
        .value_kind:     hidden_block_count_y
      - .offset:         32
        .size:           4
        .value_kind:     hidden_block_count_z
      - .offset:         36
        .size:           2
        .value_kind:     hidden_group_size_x
      - .offset:         38
        .size:           2
        .value_kind:     hidden_group_size_y
      - .offset:         40
        .size:           2
        .value_kind:     hidden_group_size_z
      - .offset:         42
        .size:           2
        .value_kind:     hidden_remainder_x
      - .offset:         44
        .size:           2
        .value_kind:     hidden_remainder_y
      - .offset:         46
        .size:           2
        .value_kind:     hidden_remainder_z
      - .offset:         64
        .size:           8
        .value_kind:     hidden_global_offset_x
      - .offset:         72
        .size:           8
        .value_kind:     hidden_global_offset_y
      - .offset:         80
        .size:           8
        .value_kind:     hidden_global_offset_z
      - .offset:         88
        .size:           2
        .value_kind:     hidden_grid_dims
    .group_segment_fixed_size: 0
    .kernarg_segment_align: 8
    .kernarg_segment_size: 280
    .language:       OpenCL C
    .language_version:
      - 2
      - 0
    .max_flat_workgroup_size: 1024
    .name:           _Z4fillILb0EfEviPT0_S0_
    .private_segment_fixed_size: 0
    .sgpr_count:     10
    .sgpr_spill_count: 0
    .symbol:         _Z4fillILb0EfEviPT0_S0_.kd
    .uniform_work_group_size: 1
    .uses_dynamic_stack: false
    .vgpr_count:     2
    .vgpr_spill_count: 0
    .wavefront_size: 32
  - .args:
      - .offset:         0
        .size:           4
        .value_kind:     by_value
      - .actual_access:  read_only
        .address_space:  global
        .offset:         8
        .size:           8
        .value_kind:     global_buffer
      - .actual_access:  read_only
        .address_space:  global
        .offset:         16
        .size:           8
        .value_kind:     global_buffer
      - .actual_access:  read_only
        .address_space:  global
        .offset:         24
        .size:           8
        .value_kind:     global_buffer
      - .actual_access:  write_only
        .address_space:  global
        .offset:         32
        .size:           8
        .value_kind:     global_buffer
      - .offset:         40
        .size:           4
        .value_kind:     hidden_block_count_x
      - .offset:         44
        .size:           4
        .value_kind:     hidden_block_count_y
      - .offset:         48
        .size:           4
        .value_kind:     hidden_block_count_z
      - .offset:         52
        .size:           2
        .value_kind:     hidden_group_size_x
      - .offset:         54
        .size:           2
        .value_kind:     hidden_group_size_y
      - .offset:         56
        .size:           2
        .value_kind:     hidden_group_size_z
      - .offset:         58
        .size:           2
        .value_kind:     hidden_remainder_x
      - .offset:         60
        .size:           2
        .value_kind:     hidden_remainder_y
      - .offset:         62
        .size:           2
        .value_kind:     hidden_remainder_z
      - .offset:         80
        .size:           8
        .value_kind:     hidden_global_offset_x
      - .offset:         88
        .size:           8
        .value_kind:     hidden_global_offset_y
      - .offset:         96
        .size:           8
        .value_kind:     hidden_global_offset_z
      - .offset:         104
        .size:           2
        .value_kind:     hidden_grid_dims
    .group_segment_fixed_size: 0
    .kernarg_segment_align: 8
    .kernarg_segment_size: 296
    .language:       OpenCL C
    .language_version:
      - 2
      - 0
    .max_flat_workgroup_size: 1024
    .name:           _Z15jaccard_row_sumILb1EfEviPKiS1_PKT0_PS2_
    .private_segment_fixed_size: 0
    .sgpr_count:     22
    .sgpr_spill_count: 0
    .symbol:         _Z15jaccard_row_sumILb1EfEviPKiS1_PKT0_PS2_.kd
    .uniform_work_group_size: 1
    .uses_dynamic_stack: false
    .vgpr_count:     16
    .vgpr_spill_count: 0
    .wavefront_size: 32
  - .args:
      - .offset:         0
        .size:           4
        .value_kind:     by_value
      - .offset:         4
        .size:           4
        .value_kind:     by_value
      - .actual_access:  read_only
        .address_space:  global
        .offset:         8
        .size:           8
        .value_kind:     global_buffer
      - .actual_access:  read_only
        .address_space:  global
        .offset:         16
        .size:           8
        .value_kind:     global_buffer
      - .actual_access:  read_only
        .address_space:  global
        .offset:         24
        .size:           8
        .value_kind:     global_buffer
      - .actual_access:  read_only
        .address_space:  global
        .offset:         32
        .size:           8
        .value_kind:     global_buffer
      - .address_space:  global
        .offset:         40
        .size:           8
        .value_kind:     global_buffer
      - .actual_access:  write_only
        .address_space:  global
        .offset:         48
        .size:           8
        .value_kind:     global_buffer
      - .offset:         56
        .size:           4
        .value_kind:     hidden_block_count_x
      - .offset:         60
        .size:           4
        .value_kind:     hidden_block_count_y
      - .offset:         64
        .size:           4
        .value_kind:     hidden_block_count_z
      - .offset:         68
        .size:           2
        .value_kind:     hidden_group_size_x
      - .offset:         70
        .size:           2
        .value_kind:     hidden_group_size_y
      - .offset:         72
        .size:           2
        .value_kind:     hidden_group_size_z
      - .offset:         74
        .size:           2
        .value_kind:     hidden_remainder_x
      - .offset:         76
        .size:           2
        .value_kind:     hidden_remainder_y
      - .offset:         78
        .size:           2
        .value_kind:     hidden_remainder_z
      - .offset:         96
        .size:           8
        .value_kind:     hidden_global_offset_x
      - .offset:         104
        .size:           8
        .value_kind:     hidden_global_offset_y
      - .offset:         112
        .size:           8
        .value_kind:     hidden_global_offset_z
      - .offset:         120
        .size:           2
        .value_kind:     hidden_grid_dims
    .group_segment_fixed_size: 0
    .kernarg_segment_align: 8
    .kernarg_segment_size: 312
    .language:       OpenCL C
    .language_version:
      - 2
      - 0
    .max_flat_workgroup_size: 1024
    .name:           _Z14jaccard_is_optILb1EfEviiPKiS1_PKT0_S4_PS2_S5_
    .private_segment_fixed_size: 0
    .sgpr_count:     26
    .sgpr_spill_count: 0
    .symbol:         _Z14jaccard_is_optILb1EfEviiPKiS1_PKT0_S4_PS2_S5_.kd
    .uniform_work_group_size: 1
    .uses_dynamic_stack: false
    .vgpr_count:     16
    .vgpr_spill_count: 0
    .wavefront_size: 32
  - .args:
      - .offset:         0
        .size:           4
        .value_kind:     by_value
      - .actual_access:  read_only
        .address_space:  global
        .offset:         8
        .size:           8
        .value_kind:     global_buffer
      - .offset:         16
        .size:           4
        .value_kind:     by_value
      - .actual_access:  read_only
        .address_space:  global
        .offset:         24
        .size:           8
        .value_kind:     global_buffer
      - .actual_access:  read_only
        .address_space:  global
        .offset:         32
        .size:           8
        .value_kind:     global_buffer
      - .actual_access:  write_only
        .address_space:  global
        .offset:         40
        .size:           8
        .value_kind:     global_buffer
      - .offset:         48
        .size:           4
        .value_kind:     hidden_block_count_x
      - .offset:         52
        .size:           4
        .value_kind:     hidden_block_count_y
      - .offset:         56
        .size:           4
        .value_kind:     hidden_block_count_z
      - .offset:         60
        .size:           2
        .value_kind:     hidden_group_size_x
      - .offset:         62
        .size:           2
        .value_kind:     hidden_group_size_y
      - .offset:         64
        .size:           2
        .value_kind:     hidden_group_size_z
      - .offset:         66
        .size:           2
        .value_kind:     hidden_remainder_x
      - .offset:         68
        .size:           2
        .value_kind:     hidden_remainder_y
      - .offset:         70
        .size:           2
        .value_kind:     hidden_remainder_z
      - .offset:         88
        .size:           8
        .value_kind:     hidden_global_offset_x
      - .offset:         96
        .size:           8
        .value_kind:     hidden_global_offset_y
      - .offset:         104
        .size:           8
        .value_kind:     hidden_global_offset_z
      - .offset:         112
        .size:           2
        .value_kind:     hidden_grid_dims
    .group_segment_fixed_size: 0
    .kernarg_segment_align: 8
    .kernarg_segment_size: 304
    .language:       OpenCL C
    .language_version:
      - 2
      - 0
    .max_flat_workgroup_size: 1024
    .name:           _Z10jaccard_jwILb1EfEviPKT0_S0_S2_S2_PS0_
    .private_segment_fixed_size: 0
    .sgpr_count:     19
    .sgpr_spill_count: 0
    .symbol:         _Z10jaccard_jwILb1EfEviPKT0_S0_S2_S2_PS0_.kd
    .uniform_work_group_size: 1
    .uses_dynamic_stack: false
    .vgpr_count:     9
    .vgpr_spill_count: 0
    .wavefront_size: 32
  - .args:
      - .offset:         0
        .size:           4
        .value_kind:     by_value
      - .actual_access:  read_only
        .address_space:  global
        .offset:         8
        .size:           8
        .value_kind:     global_buffer
      - .actual_access:  read_only
        .address_space:  global
        .offset:         16
        .size:           8
        .value_kind:     global_buffer
      - .actual_access:  read_only
        .address_space:  global
        .offset:         24
        .size:           8
        .value_kind:     global_buffer
      - .actual_access:  write_only
        .address_space:  global
        .offset:         32
        .size:           8
        .value_kind:     global_buffer
      - .offset:         40
        .size:           4
        .value_kind:     hidden_block_count_x
      - .offset:         44
        .size:           4
        .value_kind:     hidden_block_count_y
      - .offset:         48
        .size:           4
        .value_kind:     hidden_block_count_z
      - .offset:         52
        .size:           2
        .value_kind:     hidden_group_size_x
      - .offset:         54
        .size:           2
        .value_kind:     hidden_group_size_y
      - .offset:         56
        .size:           2
        .value_kind:     hidden_group_size_z
      - .offset:         58
        .size:           2
        .value_kind:     hidden_remainder_x
      - .offset:         60
        .size:           2
        .value_kind:     hidden_remainder_y
      - .offset:         62
        .size:           2
        .value_kind:     hidden_remainder_z
      - .offset:         80
        .size:           8
        .value_kind:     hidden_global_offset_x
      - .offset:         88
        .size:           8
        .value_kind:     hidden_global_offset_y
      - .offset:         96
        .size:           8
        .value_kind:     hidden_global_offset_z
      - .offset:         104
        .size:           2
        .value_kind:     hidden_grid_dims
    .group_segment_fixed_size: 0
    .kernarg_segment_align: 8
    .kernarg_segment_size: 296
    .language:       OpenCL C
    .language_version:
      - 2
      - 0
    .max_flat_workgroup_size: 1024
    .name:           _Z15jaccard_row_sumILb0EfEviPKiS1_PKT0_PS2_
    .private_segment_fixed_size: 0
    .sgpr_count:     14
    .sgpr_spill_count: 0
    .symbol:         _Z15jaccard_row_sumILb0EfEviPKiS1_PKT0_PS2_.kd
    .uniform_work_group_size: 1
    .uses_dynamic_stack: false
    .vgpr_count:     4
    .vgpr_spill_count: 0
    .wavefront_size: 32
  - .args:
      - .offset:         0
        .size:           4
        .value_kind:     by_value
      - .offset:         4
        .size:           4
        .value_kind:     by_value
      - .actual_access:  read_only
        .address_space:  global
        .offset:         8
        .size:           8
        .value_kind:     global_buffer
      - .actual_access:  read_only
        .address_space:  global
        .offset:         16
        .size:           8
        .value_kind:     global_buffer
      - .actual_access:  read_only
        .address_space:  global
        .offset:         24
        .size:           8
        .value_kind:     global_buffer
      - .actual_access:  read_only
        .address_space:  global
        .offset:         32
        .size:           8
        .value_kind:     global_buffer
      - .address_space:  global
        .offset:         40
        .size:           8
        .value_kind:     global_buffer
      - .actual_access:  write_only
        .address_space:  global
        .offset:         48
        .size:           8
        .value_kind:     global_buffer
      - .offset:         56
        .size:           4
        .value_kind:     hidden_block_count_x
      - .offset:         60
        .size:           4
        .value_kind:     hidden_block_count_y
      - .offset:         64
        .size:           4
        .value_kind:     hidden_block_count_z
      - .offset:         68
        .size:           2
        .value_kind:     hidden_group_size_x
      - .offset:         70
        .size:           2
        .value_kind:     hidden_group_size_y
      - .offset:         72
        .size:           2
        .value_kind:     hidden_group_size_z
      - .offset:         74
        .size:           2
        .value_kind:     hidden_remainder_x
      - .offset:         76
        .size:           2
        .value_kind:     hidden_remainder_y
      - .offset:         78
        .size:           2
        .value_kind:     hidden_remainder_z
      - .offset:         96
        .size:           8
        .value_kind:     hidden_global_offset_x
      - .offset:         104
        .size:           8
        .value_kind:     hidden_global_offset_y
      - .offset:         112
        .size:           8
        .value_kind:     hidden_global_offset_z
      - .offset:         120
        .size:           2
        .value_kind:     hidden_grid_dims
    .group_segment_fixed_size: 0
    .kernarg_segment_align: 8
    .kernarg_segment_size: 312
    .language:       OpenCL C
    .language_version:
      - 2
      - 0
    .max_flat_workgroup_size: 1024
    .name:           _Z14jaccard_is_optILb0EfEviiPKiS1_PKT0_S4_PS2_S5_
    .private_segment_fixed_size: 0
    .sgpr_count:     24
    .sgpr_spill_count: 0
    .symbol:         _Z14jaccard_is_optILb0EfEviiPKiS1_PKT0_S4_PS2_S5_.kd
    .uniform_work_group_size: 1
    .uses_dynamic_stack: false
    .vgpr_count:     16
    .vgpr_spill_count: 0
    .wavefront_size: 32
  - .args:
      - .offset:         0
        .size:           4
        .value_kind:     by_value
      - .actual_access:  read_only
        .address_space:  global
        .offset:         8
        .size:           8
        .value_kind:     global_buffer
      - .offset:         16
        .size:           4
        .value_kind:     by_value
      - .actual_access:  read_only
        .address_space:  global
        .offset:         24
        .size:           8
        .value_kind:     global_buffer
      - .actual_access:  read_only
        .address_space:  global
        .offset:         32
        .size:           8
        .value_kind:     global_buffer
      - .actual_access:  write_only
        .address_space:  global
        .offset:         40
        .size:           8
        .value_kind:     global_buffer
      - .offset:         48
        .size:           4
        .value_kind:     hidden_block_count_x
      - .offset:         52
        .size:           4
        .value_kind:     hidden_block_count_y
      - .offset:         56
        .size:           4
        .value_kind:     hidden_block_count_z
      - .offset:         60
        .size:           2
        .value_kind:     hidden_group_size_x
      - .offset:         62
        .size:           2
        .value_kind:     hidden_group_size_y
      - .offset:         64
        .size:           2
        .value_kind:     hidden_group_size_z
      - .offset:         66
        .size:           2
        .value_kind:     hidden_remainder_x
      - .offset:         68
        .size:           2
        .value_kind:     hidden_remainder_y
      - .offset:         70
        .size:           2
        .value_kind:     hidden_remainder_z
      - .offset:         88
        .size:           8
        .value_kind:     hidden_global_offset_x
      - .offset:         96
        .size:           8
        .value_kind:     hidden_global_offset_y
      - .offset:         104
        .size:           8
        .value_kind:     hidden_global_offset_z
      - .offset:         112
        .size:           2
        .value_kind:     hidden_grid_dims
    .group_segment_fixed_size: 0
    .kernarg_segment_align: 8
    .kernarg_segment_size: 304
    .language:       OpenCL C
    .language_version:
      - 2
      - 0
    .max_flat_workgroup_size: 1024
    .name:           _Z10jaccard_jwILb0EfEviPKT0_S0_S2_S2_PS0_
    .private_segment_fixed_size: 0
    .sgpr_count:     19
    .sgpr_spill_count: 0
    .symbol:         _Z10jaccard_jwILb0EfEviPKT0_S0_S2_S2_PS0_.kd
    .uniform_work_group_size: 1
    .uses_dynamic_stack: false
    .vgpr_count:     9
    .vgpr_spill_count: 0
    .wavefront_size: 32
amdhsa.target:   amdgcn-amd-amdhsa--gfx1250
amdhsa.version:
  - 1
  - 2
...

	.end_amdgpu_metadata
